;; amdgpu-corpus repo=ROCm/rocFFT kind=compiled arch=gfx906 opt=O3
	.text
	.amdgcn_target "amdgcn-amd-amdhsa--gfx906"
	.amdhsa_code_object_version 6
	.protected	bluestein_single_fwd_len867_dim1_half_op_CI_CI ; -- Begin function bluestein_single_fwd_len867_dim1_half_op_CI_CI
	.globl	bluestein_single_fwd_len867_dim1_half_op_CI_CI
	.p2align	8
	.type	bluestein_single_fwd_len867_dim1_half_op_CI_CI,@function
bluestein_single_fwd_len867_dim1_half_op_CI_CI: ; @bluestein_single_fwd_len867_dim1_half_op_CI_CI
; %bb.0:
	s_load_dwordx4 s[8:11], s[4:5], 0x28
	v_mul_u32_u24_e32 v1, 0x506, v0
	v_add_u32_sdwa v16, s6, v1 dst_sel:DWORD dst_unused:UNUSED_PAD src0_sel:DWORD src1_sel:WORD_1
	v_mov_b32_e32 v17, 0
	s_waitcnt lgkmcnt(0)
	v_cmp_gt_u64_e32 vcc, s[8:9], v[16:17]
	s_and_saveexec_b64 s[0:1], vcc
	s_cbranch_execz .LBB0_10
; %bb.1:
	s_load_dwordx4 s[0:3], s[4:5], 0x18
	s_load_dwordx4 s[12:15], s[4:5], 0x0
	v_mov_b32_e32 v2, 51
	v_mul_lo_u16_sdwa v1, v1, v2 dst_sel:DWORD dst_unused:UNUSED_PAD src0_sel:WORD_1 src1_sel:DWORD
	v_sub_u16_e32 v61, v0, v1
	s_waitcnt lgkmcnt(0)
	s_load_dwordx4 s[16:19], s[0:1], 0x0
	v_lshlrev_b32_e32 v45, 2, v61
	v_add_u32_e32 v64, 0x400, v45
	v_add_u32_e32 v65, 0x800, v45
	s_mov_b32 s21, 0xb5c8
	s_waitcnt lgkmcnt(0)
	v_mad_u64_u32 v[0:1], s[0:1], s18, v16, 0
	v_mad_u64_u32 v[2:3], s[0:1], s16, v61, 0
	s_movk_i32 s6, 0x3b76
	s_mov_b32 s18, 0xffff
	v_mad_u64_u32 v[4:5], s[0:1], s19, v16, v[1:2]
	s_mov_b32 s23, 0xb964
	s_mov_b32 s24, 0xbb29
	v_mad_u64_u32 v[5:6], s[0:1], s17, v61, v[3:4]
	v_mov_b32_e32 v1, v4
	v_lshlrev_b64 v[0:1], 2, v[0:1]
	v_mov_b32_e32 v6, s11
	v_mov_b32_e32 v3, v5
	v_add_co_u32_e32 v4, vcc, s10, v0
	v_addc_co_u32_e32 v5, vcc, v6, v1, vcc
	v_lshlrev_b64 v[0:1], 2, v[2:3]
	s_mul_i32 s0, s17, 0xcc
	v_add_co_u32_e32 v0, vcc, v4, v0
	s_mul_hi_u32 s1, s16, 0xcc
	v_addc_co_u32_e32 v1, vcc, v5, v1, vcc
	s_add_i32 s0, s1, s0
	s_mul_i32 s1, s16, 0xcc
	v_mov_b32_e32 v3, s0
	v_add_co_u32_e32 v2, vcc, s1, v0
	v_addc_co_u32_e32 v3, vcc, v1, v3, vcc
	global_load_dword v4, v[0:1], off
	global_load_dword v5, v[2:3], off
	global_load_dword v63, v45, s[12:13]
	global_load_dword v62, v45, s[12:13] offset:204
	v_mov_b32_e32 v1, s0
	v_add_co_u32_e32 v0, vcc, s1, v2
	v_addc_co_u32_e32 v1, vcc, v3, v1, vcc
	global_load_dword v2, v[0:1], off
	global_load_dword v60, v45, s[12:13] offset:408
	v_mov_b32_e32 v3, s0
	v_add_co_u32_e32 v0, vcc, s1, v0
	v_addc_co_u32_e32 v1, vcc, v1, v3, vcc
	global_load_dword v3, v[0:1], off
	;; [unrolled: 5-line block ×3, first 2 shown]
	global_load_dword v58, v45, s[12:13] offset:816
	v_mov_b32_e32 v7, s0
	v_add_co_u32_e32 v0, vcc, s1, v0
	v_addc_co_u32_e32 v1, vcc, v1, v7, vcc
	s_load_dwordx4 s[8:11], s[2:3], 0x0
	global_load_dword v57, v45, s[12:13] offset:1020
	global_load_dword v56, v45, s[12:13] offset:1224
	;; [unrolled: 1-line block ×3, first 2 shown]
	v_mov_b32_e32 v8, s0
	global_load_dword v7, v[0:1], off
	v_add_co_u32_e32 v0, vcc, s1, v0
	v_addc_co_u32_e32 v1, vcc, v1, v8, vcc
	v_mov_b32_e32 v9, s0
	global_load_dword v8, v[0:1], off
	v_add_co_u32_e32 v0, vcc, s1, v0
	v_addc_co_u32_e32 v1, vcc, v1, v9, vcc
	v_mov_b32_e32 v14, s0
	v_mov_b32_e32 v15, s0
	;; [unrolled: 1-line block ×3, first 2 shown]
	s_movk_i32 s2, 0x39e9
	s_mov_b32 s17, 0x39e92de8
	s_mov_b32 s25, 0x3722b8d2
	;; [unrolled: 1-line block ×11, first 2 shown]
	s_movk_i32 s30, 0x3bb2
	s_movk_i32 s28, 0x31e1
	;; [unrolled: 1-line block ×3, first 2 shown]
	s_waitcnt vmcnt(14)
	v_lshrrev_b32_e32 v9, 16, v4
	s_waitcnt vmcnt(12)
	v_mul_f16_sdwa v10, v63, v4 dst_sel:DWORD dst_unused:UNUSED_PAD src0_sel:WORD_1 src1_sel:DWORD
	v_mul_f16_sdwa v11, v63, v9 dst_sel:DWORD dst_unused:UNUSED_PAD src0_sel:WORD_1 src1_sel:DWORD
	v_fma_f16 v9, v63, v9, -v10
	v_lshrrev_b32_e32 v10, 16, v5
	s_waitcnt vmcnt(11)
	v_mul_f16_sdwa v12, v62, v5 dst_sel:DWORD dst_unused:UNUSED_PAD src0_sel:WORD_1 src1_sel:DWORD
	v_fma_f16 v4, v63, v4, v11
	v_mul_f16_sdwa v11, v62, v10 dst_sel:DWORD dst_unused:UNUSED_PAD src0_sel:WORD_1 src1_sel:DWORD
	v_fma_f16 v10, v62, v10, -v12
	s_waitcnt vmcnt(10)
	v_lshrrev_b32_e32 v12, 16, v2
	s_waitcnt vmcnt(9)
	v_mul_f16_sdwa v13, v60, v2 dst_sel:DWORD dst_unused:UNUSED_PAD src0_sel:WORD_1 src1_sel:DWORD
	v_pack_b32_f16 v4, v4, v9
	v_fma_f16 v5, v62, v5, v11
	v_mul_f16_sdwa v9, v60, v12 dst_sel:DWORD dst_unused:UNUSED_PAD src0_sel:WORD_1 src1_sel:DWORD
	v_fma_f16 v11, v60, v12, -v13
	s_waitcnt vmcnt(8)
	v_lshrrev_b32_e32 v12, 16, v3
	s_waitcnt vmcnt(7)
	v_mul_f16_sdwa v13, v59, v3 dst_sel:DWORD dst_unused:UNUSED_PAD src0_sel:WORD_1 src1_sel:DWORD
	v_fma_f16 v2, v60, v2, v9
	v_mul_f16_sdwa v9, v59, v12 dst_sel:DWORD dst_unused:UNUSED_PAD src0_sel:WORD_1 src1_sel:DWORD
	v_pack_b32_f16 v5, v5, v10
	v_fma_f16 v10, v59, v12, -v13
	v_fma_f16 v3, v59, v3, v9
	v_pack_b32_f16 v2, v2, v11
	v_pack_b32_f16 v3, v3, v10
	ds_write2_b32 v45, v4, v5 offset1:51
	ds_write2_b32 v45, v2, v3 offset0:102 offset1:153
	global_load_dword v2, v[0:1], off
	v_mov_b32_e32 v3, s0
	v_add_co_u32_e32 v0, vcc, s1, v0
	v_addc_co_u32_e32 v1, vcc, v1, v3, vcc
	global_load_dword v3, v[0:1], off
	global_load_dword v54, v45, s[12:13] offset:1632
	v_mov_b32_e32 v5, s0
	v_add_co_u32_e32 v0, vcc, s1, v0
	v_addc_co_u32_e32 v1, vcc, v1, v5, vcc
	global_load_dword v5, v[0:1], off
	global_load_dword v53, v45, s[12:13] offset:1836
	;; [unrolled: 5-line block ×6, first 2 shown]
	v_add_co_u32_e32 v0, vcc, s1, v0
	v_addc_co_u32_e32 v1, vcc, v1, v14, vcc
	global_load_dword v14, v[0:1], off
	global_load_dword v48, v45, s[12:13] offset:2856
	v_add_co_u32_e32 v0, vcc, s1, v0
	v_addc_co_u32_e32 v1, vcc, v1, v15, vcc
	global_load_dword v15, v[0:1], off
	global_load_dword v47, v45, s[12:13] offset:3060
	;; [unrolled: 4-line block ×3, first 2 shown]
	s_waitcnt vmcnt(25)
	v_lshrrev_b32_e32 v12, 16, v6
	s_waitcnt vmcnt(24)
	v_mul_f16_sdwa v4, v58, v12 dst_sel:DWORD dst_unused:UNUSED_PAD src0_sel:WORD_1 src1_sel:DWORD
	v_mul_f16_sdwa v0, v58, v6 dst_sel:DWORD dst_unused:UNUSED_PAD src0_sel:WORD_1 src1_sel:DWORD
	v_fma_f16 v4, v58, v6, v4
	v_fma_f16 v0, v58, v12, -v0
	s_waitcnt vmcnt(20)
	v_lshrrev_b32_e32 v1, 16, v7
	v_pack_b32_f16 v0, v4, v0
	v_mul_f16_sdwa v4, v57, v1 dst_sel:DWORD dst_unused:UNUSED_PAD src0_sel:WORD_1 src1_sel:DWORD
	v_mul_f16_sdwa v6, v57, v7 dst_sel:DWORD dst_unused:UNUSED_PAD src0_sel:WORD_1 src1_sel:DWORD
	v_fma_f16 v4, v57, v7, v4
	v_fma_f16 v1, v57, v1, -v6
	v_pack_b32_f16 v1, v4, v1
	ds_write2_b32 v45, v0, v1 offset0:204 offset1:255
	s_waitcnt vmcnt(19)
	v_lshrrev_b32_e32 v0, 16, v8
	v_mul_f16_sdwa v1, v56, v0 dst_sel:DWORD dst_unused:UNUSED_PAD src0_sel:WORD_1 src1_sel:DWORD
	v_mul_f16_sdwa v4, v56, v8 dst_sel:DWORD dst_unused:UNUSED_PAD src0_sel:WORD_1 src1_sel:DWORD
	v_fma_f16 v1, v56, v8, v1
	v_fma_f16 v0, v56, v0, -v4
	v_pack_b32_f16 v0, v1, v0
	v_add_u32_e32 v17, 0x600, v45
	s_mov_b32 s0, 0x3b7639e9
	s_movk_i32 s1, 0x3722
	s_waitcnt vmcnt(18)
	v_lshrrev_b32_e32 v1, 16, v2
	v_mul_f16_sdwa v4, v55, v1 dst_sel:DWORD dst_unused:UNUSED_PAD src0_sel:WORD_1 src1_sel:DWORD
	v_fma_f16 v4, v55, v2, v4
	v_mul_f16_sdwa v2, v55, v2 dst_sel:DWORD dst_unused:UNUSED_PAD src0_sel:WORD_1 src1_sel:DWORD
	v_fma_f16 v1, v55, v1, -v2
	v_pack_b32_f16 v1, v4, v1
	ds_write2_b32 v64, v0, v1 offset0:50 offset1:101
	s_waitcnt vmcnt(17)
	v_lshrrev_b32_e32 v0, 16, v3
	s_waitcnt vmcnt(16)
	v_mul_f16_sdwa v1, v54, v0 dst_sel:DWORD dst_unused:UNUSED_PAD src0_sel:WORD_1 src1_sel:DWORD
	v_mul_f16_sdwa v2, v54, v3 dst_sel:DWORD dst_unused:UNUSED_PAD src0_sel:WORD_1 src1_sel:DWORD
	v_fma_f16 v1, v54, v3, v1
	v_fma_f16 v0, v54, v0, -v2
	v_pack_b32_f16 v0, v1, v0
	s_waitcnt vmcnt(15)
	v_lshrrev_b32_e32 v1, 16, v5
	s_waitcnt vmcnt(14)
	v_mul_f16_sdwa v2, v53, v1 dst_sel:DWORD dst_unused:UNUSED_PAD src0_sel:WORD_1 src1_sel:DWORD
	v_mul_f16_sdwa v3, v53, v5 dst_sel:DWORD dst_unused:UNUSED_PAD src0_sel:WORD_1 src1_sel:DWORD
	v_fma_f16 v2, v53, v5, v2
	v_fma_f16 v1, v53, v1, -v3
	v_pack_b32_f16 v1, v2, v1
	ds_write2_b32 v64, v0, v1 offset0:152 offset1:203
	s_waitcnt vmcnt(13)
	v_lshrrev_b32_e32 v0, 16, v9
	s_waitcnt vmcnt(12)
	v_mul_f16_sdwa v1, v52, v0 dst_sel:DWORD dst_unused:UNUSED_PAD src0_sel:WORD_1 src1_sel:DWORD
	v_mul_f16_sdwa v2, v52, v9 dst_sel:DWORD dst_unused:UNUSED_PAD src0_sel:WORD_1 src1_sel:DWORD
	v_fma_f16 v1, v52, v9, v1
	v_fma_f16 v0, v52, v0, -v2
	v_pack_b32_f16 v0, v1, v0
	s_waitcnt vmcnt(11)
	v_lshrrev_b32_e32 v1, 16, v10
	s_waitcnt vmcnt(10)
	v_mul_f16_sdwa v2, v51, v1 dst_sel:DWORD dst_unused:UNUSED_PAD src0_sel:WORD_1 src1_sel:DWORD
	v_mul_f16_sdwa v3, v51, v10 dst_sel:DWORD dst_unused:UNUSED_PAD src0_sel:WORD_1 src1_sel:DWORD
	v_fma_f16 v2, v51, v10, v2
	;; [unrolled: 17-line block ×4, first 2 shown]
	v_fma_f16 v1, v47, v1, -v3
	v_pack_b32_f16 v1, v2, v1
	ds_write2_b32 v65, v0, v1 offset0:202 offset1:253
	s_waitcnt vmcnt(1)
	v_lshrrev_b32_e32 v0, 16, v18
	s_waitcnt vmcnt(0)
	v_mul_f16_sdwa v1, v46, v0 dst_sel:DWORD dst_unused:UNUSED_PAD src0_sel:WORD_1 src1_sel:DWORD
	v_mul_f16_sdwa v2, v46, v18 dst_sel:DWORD dst_unused:UNUSED_PAD src0_sel:WORD_1 src1_sel:DWORD
	v_fma_f16 v1, v46, v18, v1
	v_fma_f16 v0, v46, v0, -v2
	v_pack_b32_f16 v0, v1, v0
	ds_write_b32 v45, v0 offset:3264
	s_waitcnt lgkmcnt(0)
	; wave barrier
	s_waitcnt lgkmcnt(0)
	ds_read2_b32 v[0:1], v45 offset1:51
	ds_read2_b32 v[4:5], v64 offset0:50 offset1:101
	ds_read2_b32 v[2:3], v64 offset0:152 offset1:203
	;; [unrolled: 1-line block ×7, first 2 shown]
	ds_read_b32 v23, v45 offset:3264
	s_waitcnt lgkmcnt(8)
	v_pk_add_f16 v12, v0, v1
	s_waitcnt lgkmcnt(3)
	v_pk_add_f16 v12, v12, v20
	v_pk_add_f16 v12, v12, v21
	s_waitcnt lgkmcnt(1)
	v_pk_add_f16 v12, v12, v10
	v_pk_add_f16 v12, v12, v11
	;; [unrolled: 1-line block ×12, first 2 shown]
	s_waitcnt lgkmcnt(0)
	v_pk_add_f16 v12, v23, v1
	v_pk_add_f16 v1, v1, v23 neg_lo:[0,1] neg_hi:[0,1]
	v_mul_f16_sdwa v24, v1, s21 dst_sel:DWORD dst_unused:UNUSED_PAD src0_sel:WORD_1 src1_sel:DWORD
	v_fma_f16 v13, v12, s6, -v24
	v_add_f16_e32 v15, v0, v13
	v_pk_mul_f16 v13, v12, s0
	s_mov_b32 s0, 0xb964b5c8
	v_pk_fma_f16 v19, v1, s0, v13 op_sel:[0,0,1] op_sel_hi:[1,1,0] neg_lo:[1,0,0] neg_hi:[1,0,0]
	v_pk_fma_f16 v26, v1, s0, v13 op_sel:[0,0,1] op_sel_hi:[1,1,0]
	v_bfi_b32 v13, s18, v26, v19
	v_lshrrev_b32_e32 v28, 16, v12
	v_mul_f16_e32 v30, 0xb964, v1
	v_pk_add_f16 v18, v0, v13 op_sel:[1,0] op_sel_hi:[0,1]
	v_fma_f16 v13, v28, s2, v30
	v_add_f16_sdwa v22, v0, v13 dst_sel:DWORD dst_unused:UNUSED_PAD src0_sel:WORD_1 src1_sel:DWORD
	v_pk_add_f16 v13, v20, v32 neg_lo:[0,1] neg_hi:[0,1]
	v_pk_add_f16 v14, v32, v20
	v_mul_f16_sdwa v34, v13, s23 dst_sel:DWORD dst_unused:UNUSED_PAD src0_sel:WORD_1 src1_sel:DWORD
	v_fma_f16 v20, v14, s2, -v34
	v_add_f16_e32 v29, v20, v15
	v_pk_mul_f16 v15, v14, s17
	s_mov_b32 s17, 0xbbf7b964
	v_pk_fma_f16 v20, v13, s17, v15 op_sel:[0,0,1] op_sel_hi:[1,1,0] neg_lo:[1,0,0] neg_hi:[1,0,0]
	v_pk_fma_f16 v35, v13, s17, v15 op_sel:[0,0,1] op_sel_hi:[1,1,0]
	s_movk_i32 s0, 0x2de8
	v_bfi_b32 v15, s18, v35, v20
	v_lshrrev_b32_e32 v25, 16, v14
	v_mul_f16_e32 v36, 0xbbf7, v13
	v_pk_add_f16 v33, v15, v18
	v_fma_f16 v15, v25, s0, v36
	v_add_f16_e32 v37, v15, v22
	v_pk_add_f16 v15, v21, v31 neg_lo:[0,1] neg_hi:[0,1]
	v_pk_add_f16 v18, v31, v21
	v_mul_f16_sdwa v31, v15, s24 dst_sel:DWORD dst_unused:UNUSED_PAD src0_sel:WORD_1 src1_sel:DWORD
	v_fma_f16 v21, v18, s1, -v31
	v_add_f16_e32 v38, v21, v29
	v_pk_mul_f16 v21, v18, s25
	s_mov_b32 s25, 0xba62bb29
	v_pk_fma_f16 v22, v15, s25, v21 op_sel:[0,0,1] op_sel_hi:[1,1,0] neg_lo:[1,0,0] neg_hi:[1,0,0]
	v_pk_fma_f16 v32, v15, s25, v21 op_sel:[0,0,1] op_sel_hi:[1,1,0]
	v_bfi_b32 v21, s18, v32, v22
	v_pk_add_f16 v39, v21, v33
	v_lshrrev_b32_e32 v29, 16, v18
	v_mul_f16_e32 v33, 0xba62, v15
	v_fma_f16 v21, v29, s7, v33
	v_add_f16_e32 v43, v21, v37
	v_pk_add_f16 v21, v9, v10
	v_pk_add_f16 v9, v10, v9 neg_lo:[0,1] neg_hi:[0,1]
	v_mul_f16_sdwa v40, v9, s22 dst_sel:DWORD dst_unused:UNUSED_PAD src0_sel:WORD_1 src1_sel:DWORD
	v_fma_f16 v10, v21, s0, -v40
	s_mov_b32 s25, 0x2de8bbdd
	v_add_f16_e32 v38, v10, v38
	v_pk_mul_f16 v10, v21, s25
	s_mov_b32 s25, 0xb1e1bbf7
	v_pk_fma_f16 v37, v9, s25, v10 op_sel:[0,0,1] op_sel_hi:[1,1,0] neg_lo:[1,0,0] neg_hi:[1,0,0]
	v_pk_fma_f16 v41, v9, s25, v10 op_sel:[0,0,1] op_sel_hi:[1,1,0]
	v_bfi_b32 v10, s18, v41, v37
	s_mov_b32 s17, 0xbbdd
	v_pk_add_f16 v66, v10, v39
	v_lshrrev_b32_e32 v39, 16, v21
	v_mul_f16_e32 v42, 0xb1e1, v9
	v_fma_f16 v10, v39, s17, v42
	v_add_f16_e32 v43, v10, v43
	v_pk_add_f16 v10, v8, v11
	v_pk_add_f16 v8, v11, v8 neg_lo:[0,1] neg_hi:[0,1]
	v_mul_f16_sdwa v44, v8, s19 dst_sel:DWORD dst_unused:UNUSED_PAD src0_sel:WORD_1 src1_sel:DWORD
	v_fma_f16 v11, v10, s3, -v44
	s_mov_b32 s25, 0xb461bacd
	v_add_f16_e32 v68, v11, v38
	v_pk_mul_f16 v11, v10, s25
	s_mov_b32 s25, 0x3836bbb2
	v_pk_fma_f16 v38, v8, s25, v11 op_sel:[0,0,1] op_sel_hi:[1,1,0] neg_lo:[1,0,0] neg_hi:[1,0,0]
	v_pk_fma_f16 v67, v8, s25, v11 op_sel:[0,0,1] op_sel_hi:[1,1,0]
	v_bfi_b32 v11, s18, v67, v38
	v_pk_add_f16 v66, v11, v66
	v_pk_add_f16 v11, v7, v4
	v_pk_add_f16 v4, v4, v7 neg_lo:[0,1] neg_hi:[0,1]
	v_lshrrev_b32_e32 v70, 16, v10
	v_mul_f16_e32 v76, 0x3836, v8
	v_pk_add_f16 v7, v6, v5
	v_pk_add_f16 v6, v5, v6 neg_lo:[0,1] neg_hi:[0,1]
	v_fma_f16 v5, v70, s16, v76
	v_mul_f16_sdwa v71, v4, s20 dst_sel:DWORD dst_unused:UNUSED_PAD src0_sel:WORD_1 src1_sel:DWORD
	s_mov_b32 s25, 0xb8d2b461
	v_add_f16_e32 v5, v5, v43
	v_fma_f16 v43, v11, s7, -v71
	v_pk_mul_f16 v69, v11, s25
	v_add_f16_e32 v43, v43, v68
	v_pk_fma_f16 v68, v4, s26, v69 op_sel:[0,0,1] op_sel_hi:[1,1,0] neg_lo:[1,0,0] neg_hi:[1,0,0]
	v_pk_fma_f16 v72, v4, s26, v69 op_sel:[0,0,1] op_sel_hi:[1,1,0]
	v_bfi_b32 v69, s18, v72, v68
	v_pk_add_f16 v66, v69, v66
	v_lshrrev_b32_e32 v69, 16, v11
	v_mul_f16_e32 v73, 0x3bb2, v4
	s_mov_b32 s25, 0xb836
	v_fma_f16 v74, v69, s3, v73
	v_mul_f16_sdwa v77, v6, s25 dst_sel:DWORD dst_unused:UNUSED_PAD src0_sel:WORD_1 src1_sel:DWORD
	v_add_f16_e32 v79, v74, v5
	v_fma_f16 v5, v7, s16, -v77
	s_mov_b32 s26, 0xbacd3722
	v_add_f16_e32 v81, v5, v43
	v_pk_mul_f16 v5, v7, s26
	v_pk_fma_f16 v74, v6, s27, v5 op_sel:[0,0,1] op_sel_hi:[1,1,0] neg_lo:[1,0,0] neg_hi:[1,0,0]
	v_pk_fma_f16 v5, v6, s27, v5 op_sel:[0,0,1] op_sel_hi:[1,1,0]
	v_bfi_b32 v43, s18, v5, v74
	v_lshrrev_b32_e32 v75, 16, v7
	v_mul_f16_e32 v78, 0x3b29, v6
	v_pk_add_f16 v66, v43, v66
	v_fma_f16 v43, v75, s1, v78
	v_add_f16_e32 v83, v43, v79
	v_pk_add_f16 v43, v3, v2
	v_pk_add_f16 v3, v2, v3 neg_lo:[0,1] neg_hi:[0,1]
	s_mov_b32 s26, 0xb1e1
	v_mul_f16_sdwa v80, v3, s26 dst_sel:DWORD dst_unused:UNUSED_PAD src0_sel:WORD_1 src1_sel:DWORD
	v_fma_f16 v2, v43, s17, -v80
	s_mov_b32 s27, 0xbbdd3b76
	v_add_f16_e32 v84, v2, v81
	v_pk_mul_f16 v2, v43, s27
	v_pk_fma_f16 v81, v3, s29, v2 op_sel:[0,0,1] op_sel_hi:[1,1,0] neg_lo:[1,0,0] neg_hi:[1,0,0]
	v_pk_fma_f16 v79, v3, s29, v2 op_sel:[0,0,1] op_sel_hi:[1,1,0]
	v_bfi_b32 v79, s18, v79, v81
	v_pk_add_f16 v66, v79, v66
	v_lshrrev_b32_e32 v79, 16, v43
	v_mul_f16_e32 v82, 0x35c8, v3
	v_fma_f16 v85, v79, s6, v82
	v_fma_f16 v24, v12, s6, v24
	v_add_f16_e32 v83, v85, v83
	v_pk_add_f16 v23, v27, v23
	v_fma_f16 v27, v28, s2, -v30
	v_add_f16_e32 v24, v0, v24
	v_fma_f16 v34, v14, s2, v34
	v_alignbit_b32 v83, v83, v66, 16
	v_pack_b32_f16 v84, v84, v66
	v_mul_lo_u16_e32 v66, 17, v61
	v_add_f16_e32 v24, v34, v24
	v_add_f16_sdwa v27, v0, v27 dst_sel:DWORD dst_unused:UNUSED_PAD src0_sel:WORD_1 src1_sel:DWORD
	v_fma_f16 v34, v25, s0, -v36
	v_lshlrev_b32_e32 v66, 2, v66
	v_pk_add_f16 v26, v0, v26 op_sel:[1,0] op_sel_hi:[0,1]
	v_add_f16_e32 v27, v34, v27
	v_mul_f16_sdwa v34, v1, s24 dst_sel:DWORD dst_unused:UNUSED_PAD src0_sel:WORD_1 src1_sel:DWORD
	s_waitcnt lgkmcnt(0)
	; wave barrier
	ds_write2_b32 v66, v84, v83 offset0:1 offset1:2
	v_mul_f16_e32 v30, 0xbb29, v1
	v_mul_f16_e32 v84, 0xbbf7, v1
	;; [unrolled: 1-line block ×5, first 2 shown]
	v_pk_add_f16 v26, v35, v26
	v_fma_f16 v35, v12, s1, -v34
	v_mul_f16_sdwa v36, v13, s20 dst_sel:DWORD dst_unused:UNUSED_PAD src0_sel:WORD_1 src1_sel:DWORD
	v_fma_f16 v83, v28, s1, v30
	v_fma_f16 v30, v28, s1, -v30
	v_fma_f16 v85, v28, s0, v84
	v_fma_f16 v84, v28, s0, -v84
	;; [unrolled: 2-line block ×5, first 2 shown]
	v_add_f16_e32 v35, v0, v35
	v_fma_f16 v90, v14, s7, -v36
	v_fma_f16 v34, v12, s1, v34
	v_add_f16_e32 v35, v90, v35
	v_mul_f16_e32 v90, 0xba62, v13
	v_add_f16_e32 v34, v0, v34
	v_fma_f16 v36, v14, s7, v36
	v_add_f16_e32 v34, v36, v34
	v_add_f16_sdwa v30, v0, v30 dst_sel:DWORD dst_unused:UNUSED_PAD src0_sel:WORD_1 src1_sel:DWORD
	v_fma_f16 v36, v25, s7, -v90
	v_add_f16_sdwa v83, v0, v83 dst_sel:DWORD dst_unused:UNUSED_PAD src0_sel:WORD_1 src1_sel:DWORD
	v_fma_f16 v92, v25, s7, v90
	v_add_f16_e32 v30, v36, v30
	v_mul_f16_sdwa v36, v1, s22 dst_sel:DWORD dst_unused:UNUSED_PAD src0_sel:WORD_1 src1_sel:DWORD
	v_add_f16_e32 v83, v92, v83
	v_fma_f16 v90, v12, s0, -v36
	v_mul_f16_sdwa v92, v13, s26 dst_sel:DWORD dst_unused:UNUSED_PAD src0_sel:WORD_1 src1_sel:DWORD
	v_add_f16_e32 v90, v0, v90
	v_fma_f16 v93, v14, s17, -v92
	v_fma_f16 v36, v12, s0, v36
	v_add_f16_e32 v90, v93, v90
	v_mul_f16_e32 v93, 0xb1e1, v13
	v_add_f16_e32 v36, v0, v36
	v_fma_f16 v92, v14, s17, v92
	v_add_f16_e32 v36, v92, v36
	v_add_f16_sdwa v84, v0, v84 dst_sel:DWORD dst_unused:UNUSED_PAD src0_sel:WORD_1 src1_sel:DWORD
	v_fma_f16 v92, v25, s17, -v93
	v_add_f16_sdwa v85, v0, v85 dst_sel:DWORD dst_unused:UNUSED_PAD src0_sel:WORD_1 src1_sel:DWORD
	v_fma_f16 v94, v25, s17, v93
	v_add_f16_e32 v84, v92, v84
	v_mul_f16_sdwa v92, v1, s19 dst_sel:DWORD dst_unused:UNUSED_PAD src0_sel:WORD_1 src1_sel:DWORD
	s_movk_i32 s27, 0x3836
	v_add_f16_e32 v85, v94, v85
	v_fma_f16 v93, v12, s3, -v92
	v_mul_f16_sdwa v94, v13, s27 dst_sel:DWORD dst_unused:UNUSED_PAD src0_sel:WORD_1 src1_sel:DWORD
	v_add_f16_e32 v93, v0, v93
	v_fma_f16 v95, v14, s16, -v94
	v_fma_f16 v92, v12, s3, v92
	v_add_f16_e32 v93, v95, v93
	v_mul_f16_e32 v95, 0x3836, v13
	v_add_f16_e32 v92, v0, v92
	v_fma_f16 v94, v14, s16, v94
	v_add_f16_e32 v92, v94, v92
	v_add_f16_sdwa v86, v0, v86 dst_sel:DWORD dst_unused:UNUSED_PAD src0_sel:WORD_1 src1_sel:DWORD
	v_fma_f16 v94, v25, s16, -v95
	v_add_f16_sdwa v87, v0, v87 dst_sel:DWORD dst_unused:UNUSED_PAD src0_sel:WORD_1 src1_sel:DWORD
	v_fma_f16 v96, v25, s16, v95
	v_add_f16_e32 v86, v94, v86
	v_mul_f16_sdwa v94, v1, s20 dst_sel:DWORD dst_unused:UNUSED_PAD src0_sel:WORD_1 src1_sel:DWORD
	v_add_f16_e32 v87, v96, v87
	v_fma_f16 v95, v12, s7, -v94
	v_mul_f16_sdwa v96, v13, s30 dst_sel:DWORD dst_unused:UNUSED_PAD src0_sel:WORD_1 src1_sel:DWORD
	v_add_f16_e32 v95, v0, v95
	v_fma_f16 v97, v14, s3, -v96
	v_fma_f16 v94, v12, s7, v94
	v_add_f16_e32 v95, v97, v95
	v_mul_f16_e32 v97, 0x3bb2, v13
	v_add_f16_e32 v94, v0, v94
	v_fma_f16 v96, v14, s3, v96
	v_add_f16_e32 v94, v96, v94
	v_add_f16_sdwa v88, v0, v88 dst_sel:DWORD dst_unused:UNUSED_PAD src0_sel:WORD_1 src1_sel:DWORD
	v_fma_f16 v96, v25, s3, -v97
	v_add_f16_sdwa v89, v0, v89 dst_sel:DWORD dst_unused:UNUSED_PAD src0_sel:WORD_1 src1_sel:DWORD
	v_fma_f16 v98, v25, s3, v97
	v_add_f16_e32 v88, v96, v88
	v_mul_f16_sdwa v96, v1, s25 dst_sel:DWORD dst_unused:UNUSED_PAD src0_sel:WORD_1 src1_sel:DWORD
	s_movk_i32 s27, 0x3b29
	v_add_f16_e32 v89, v98, v89
	v_fma_f16 v97, v12, s16, -v96
	v_mul_f16_sdwa v98, v13, s27 dst_sel:DWORD dst_unused:UNUSED_PAD src0_sel:WORD_1 src1_sel:DWORD
	v_add_f16_e32 v97, v0, v97
	v_fma_f16 v99, v14, s1, -v98
	v_add_f16_e32 v97, v99, v97
	v_mul_f16_e32 v99, 0x3b29, v13
	v_fma_f16 v100, v25, s1, v99
	v_fma_f16 v25, v25, s1, -v99
	v_add_f16_sdwa v28, v0, v28 dst_sel:DWORD dst_unused:UNUSED_PAD src0_sel:WORD_1 src1_sel:DWORD
	v_add_f16_e32 v25, v25, v28
	v_fma_f16 v28, v18, s1, v31
	v_add_f16_e32 v24, v28, v24
	v_fma_f16 v28, v29, s7, -v33
	v_add_f16_e32 v27, v28, v27
	v_mul_f16_sdwa v28, v15, s28 dst_sel:DWORD dst_unused:UNUSED_PAD src0_sel:WORD_1 src1_sel:DWORD
	v_pk_add_f16 v26, v32, v26
	v_fma_f16 v31, v18, s17, -v28
	v_mul_f16_e32 v32, 0x31e1, v15
	v_add_f16_e32 v31, v31, v35
	v_fma_f16 v33, v29, s17, v32
	v_fma_f16 v32, v29, s17, -v32
	v_mul_f16_e32 v35, 0x3bb2, v15
	v_add_f16_e32 v33, v33, v83
	v_fma_f16 v28, v18, s17, v28
	v_add_f16_e32 v30, v32, v30
	v_mul_f16_sdwa v32, v15, s30 dst_sel:DWORD dst_unused:UNUSED_PAD src0_sel:WORD_1 src1_sel:DWORD
	v_fma_f16 v83, v29, s3, v35
	v_add_f16_e32 v28, v28, v34
	v_fma_f16 v34, v18, s3, -v32
	v_add_f16_e32 v83, v83, v85
	v_mul_f16_e32 v85, 0x3964, v15
	v_add_f16_e32 v34, v34, v90
	v_fma_f16 v32, v18, s3, v32
	s_movk_i32 s28, 0x3964
	v_fma_f16 v90, v29, s2, v85
	v_fma_f16 v85, v29, s2, -v85
	v_add_f16_e32 v32, v32, v36
	v_fma_f16 v35, v29, s3, -v35
	v_mul_f16_sdwa v36, v15, s28 dst_sel:DWORD dst_unused:UNUSED_PAD src0_sel:WORD_1 src1_sel:DWORD
	v_add_f16_e32 v85, v85, v86
	v_mul_f16_sdwa v86, v15, s21 dst_sel:DWORD dst_unused:UNUSED_PAD src0_sel:WORD_1 src1_sel:DWORD
	v_add_f16_e32 v35, v35, v84
	v_fma_f16 v84, v18, s2, -v36
	v_add_f16_e32 v87, v90, v87
	v_fma_f16 v36, v18, s2, v36
	v_fma_f16 v90, v18, s6, -v86
	v_fma_f16 v86, v18, s6, v86
	v_add_f16_e32 v36, v36, v92
	v_mul_f16_e32 v92, 0xb5c8, v15
	v_add_f16_e32 v86, v86, v94
	v_mul_f16_e32 v94, 0xbbf7, v15
	v_add_f16_e32 v84, v84, v93
	v_add_f16_e32 v90, v90, v95
	v_fma_f16 v93, v29, s6, v92
	v_fma_f16 v92, v29, s6, -v92
	v_fma_f16 v95, v29, s0, v94
	v_fma_f16 v29, v29, s0, -v94
	v_add_f16_e32 v25, v29, v25
	v_fma_f16 v29, v21, s0, v40
	v_add_f16_e32 v24, v29, v24
	v_fma_f16 v29, v39, s17, -v42
	v_add_f16_e32 v27, v29, v27
	v_mul_f16_sdwa v29, v9, s30 dst_sel:DWORD dst_unused:UNUSED_PAD src0_sel:WORD_1 src1_sel:DWORD
	v_fma_f16 v40, v21, s3, -v29
	v_add_f16_e32 v31, v40, v31
	v_mul_f16_e32 v40, 0x3bb2, v9
	v_fma_f16 v29, v21, s3, v29
	v_add_f16_e32 v28, v29, v28
	v_fma_f16 v29, v39, s3, -v40
	s_movk_i32 s30, 0x35c8
	v_add_f16_e32 v29, v29, v30
	v_mul_f16_sdwa v30, v9, s30 dst_sel:DWORD dst_unused:UNUSED_PAD src0_sel:WORD_1 src1_sel:DWORD
	v_pk_add_f16 v26, v41, v26
	v_fma_f16 v41, v39, s3, v40
	v_fma_f16 v40, v21, s6, -v30
	v_add_f16_e32 v34, v40, v34
	v_mul_f16_e32 v40, 0x35c8, v9
	v_fma_f16 v30, v21, s6, v30
	v_add_f16_e32 v30, v30, v32
	v_fma_f16 v32, v39, s6, -v40
	v_add_f16_e32 v32, v32, v35
	v_mul_f16_sdwa v35, v9, s24 dst_sel:DWORD dst_unused:UNUSED_PAD src0_sel:WORD_1 src1_sel:DWORD
	v_add_f16_e32 v33, v41, v33
	v_fma_f16 v41, v39, s6, v40
	v_fma_f16 v40, v21, s1, -v35
	v_mul_f16_e32 v42, 0xbb29, v9
	v_fma_f16 v35, v21, s1, v35
	v_add_f16_e32 v35, v35, v36
	v_fma_f16 v36, v39, s1, -v42
	v_add_f16_e32 v41, v41, v83
	v_fma_f16 v83, v39, s1, v42
	v_add_f16_e32 v36, v36, v85
	v_mul_f16_e32 v85, 0xb836, v9
	v_add_f16_e32 v89, v93, v89
	v_add_f16_e32 v83, v83, v87
	v_mul_f16_sdwa v42, v9, s25 dst_sel:DWORD dst_unused:UNUSED_PAD src0_sel:WORD_1 src1_sel:DWORD
	v_fma_f16 v87, v39, s16, v85
	v_add_f16_e32 v40, v40, v84
	v_fma_f16 v84, v21, s16, -v42
	v_add_f16_e32 v87, v87, v89
	v_mul_f16_e32 v89, 0x3a62, v9
	v_add_f16_e32 v84, v84, v90
	v_fma_f16 v85, v39, s16, -v85
	v_fma_f16 v90, v39, s7, v89
	v_fma_f16 v39, v39, s7, -v89
	v_add_f16_e32 v25, v39, v25
	v_fma_f16 v39, v10, s3, v44
	v_add_f16_e32 v24, v39, v24
	v_fma_f16 v39, v70, s16, -v76
	v_add_f16_e32 v27, v39, v27
	v_mul_f16_sdwa v39, v8, s28 dst_sel:DWORD dst_unused:UNUSED_PAD src0_sel:WORD_1 src1_sel:DWORD
	v_fma_f16 v44, v10, s2, -v39
	v_add_f16_e32 v31, v44, v31
	v_mul_f16_e32 v44, 0x3964, v8
	v_fma_f16 v39, v10, s2, v39
	v_add_f16_e32 v28, v39, v28
	v_fma_f16 v39, v70, s2, -v44
	v_add_f16_e32 v29, v39, v29
	v_mul_f16_sdwa v39, v8, s24 dst_sel:DWORD dst_unused:UNUSED_PAD src0_sel:WORD_1 src1_sel:DWORD
	v_pk_add_f16 v26, v67, v26
	v_fma_f16 v67, v70, s2, v44
	v_fma_f16 v44, v10, s1, -v39
	v_add_f16_e32 v34, v44, v34
	v_mul_f16_e32 v44, 0xbb29, v8
	v_fma_f16 v39, v10, s1, v39
	v_add_f16_e32 v30, v39, v30
	v_fma_f16 v39, v70, s1, -v44
	v_add_f16_e32 v32, v39, v32
	v_mul_f16_sdwa v39, v8, s26 dst_sel:DWORD dst_unused:UNUSED_PAD src0_sel:WORD_1 src1_sel:DWORD
	v_add_f16_e32 v33, v67, v33
	v_fma_f16 v67, v70, s1, v44
	v_fma_f16 v44, v10, s17, -v39
	v_add_f16_e32 v40, v44, v40
	v_mul_f16_e32 v44, 0xb1e1, v8
	v_fma_f16 v39, v10, s17, v39
	v_add_f16_e32 v35, v39, v35
	v_fma_f16 v39, v70, s17, -v44
	s_movk_i32 s24, 0x3bf7
	v_fma_f16 v42, v21, s16, v42
	v_add_f16_e32 v36, v39, v36
	v_mul_f16_sdwa v39, v8, s24 dst_sel:DWORD dst_unused:UNUSED_PAD src0_sel:WORD_1 src1_sel:DWORD
	v_add_f16_e32 v88, v92, v88
	v_add_f16_e32 v42, v42, v86
	;; [unrolled: 1-line block ×3, first 2 shown]
	v_fma_f16 v67, v70, s17, v44
	v_fma_f16 v44, v10, s0, -v39
	v_mul_f16_e32 v76, 0x3bf7, v8
	v_fma_f16 v39, v10, s0, v39
	v_add_f16_e32 v85, v85, v88
	v_add_f16_e32 v39, v39, v42
	v_fma_f16 v42, v70, s0, -v76
	v_add_f16_e32 v67, v67, v83
	v_fma_f16 v83, v70, s0, v76
	v_add_f16_e32 v42, v42, v85
	v_mul_f16_e32 v85, 0xb5c8, v8
	v_add_f16_e32 v83, v83, v87
	v_fma_f16 v87, v70, s6, v85
	v_fma_f16 v70, v70, s6, -v85
	v_add_f16_e32 v70, v70, v25
	v_fma_f16 v25, v11, s7, v71
	v_add_f16_e32 v71, v25, v24
	v_fma_f16 v25, v69, s3, -v73
	v_pk_add_f16 v24, v72, v26
	v_add_f16_e32 v26, v25, v27
	v_mul_f16_sdwa v25, v4, s21 dst_sel:DWORD dst_unused:UNUSED_PAD src0_sel:WORD_1 src1_sel:DWORD
	v_fma_f16 v27, v11, s6, -v25
	v_add_f16_e32 v27, v27, v31
	v_mul_f16_e32 v31, 0xb5c8, v4
	v_fma_f16 v25, v11, s6, v25
	v_add_f16_e32 v28, v25, v28
	v_fma_f16 v25, v69, s6, -v31
	v_add_f16_e32 v25, v25, v29
	v_mul_f16_sdwa v29, v4, s25 dst_sel:DWORD dst_unused:UNUSED_PAD src0_sel:WORD_1 src1_sel:DWORD
	v_fma_f16 v72, v69, s6, v31
	v_fma_f16 v31, v11, s16, -v29
	v_add_f16_e32 v31, v31, v34
	v_mul_f16_e32 v34, 0xb836, v4
	v_fma_f16 v29, v11, s16, v29
	v_add_f16_e32 v29, v29, v30
	v_fma_f16 v30, v69, s16, -v34
	v_add_f16_e32 v30, v30, v32
	v_mul_f16_sdwa v32, v4, s24 dst_sel:DWORD dst_unused:UNUSED_PAD src0_sel:WORD_1 src1_sel:DWORD
	v_add_f16_e32 v33, v72, v33
	v_fma_f16 v72, v69, s16, v34
	v_fma_f16 v34, v11, s0, -v32
	v_add_f16_e32 v34, v34, v40
	v_mul_f16_e32 v40, 0x3bf7, v4
	v_fma_f16 v32, v11, s0, v32
	v_add_f16_e32 v32, v32, v35
	v_fma_f16 v35, v69, s0, -v40
	v_add_f16_e32 v35, v35, v36
	v_mul_f16_sdwa v36, v4, s23 dst_sel:DWORD dst_unused:UNUSED_PAD src0_sel:WORD_1 src1_sel:DWORD
	v_add_f16_e32 v44, v44, v84
	v_add_f16_e32 v41, v72, v41
	v_fma_f16 v72, v69, s0, v40
	v_fma_f16 v40, v11, s2, -v36
	v_add_f16_e32 v40, v40, v44
	v_mul_f16_e32 v44, 0xb964, v4
	v_add_f16_e32 v67, v72, v67
	v_fma_f16 v72, v69, s2, v44
	v_fma_f16 v36, v11, s2, v36
	v_mul_f16_e32 v73, 0xb1e1, v4
	v_fma_f16 v96, v12, s16, v96
	v_add_f16_e32 v72, v72, v83
	v_add_f16_e32 v36, v36, v39
	v_fma_f16 v39, v69, s2, -v44
	v_fma_f16 v83, v69, s17, v73
	v_fma_f16 v69, v69, s17, -v73
	v_add_f16_e32 v96, v0, v96
	v_fma_f16 v98, v14, s1, v98
	v_mul_f16_sdwa v92, v15, s22 dst_sel:DWORD dst_unused:UNUSED_PAD src0_sel:WORD_1 src1_sel:DWORD
	v_add_f16_e32 v69, v69, v70
	v_fma_f16 v70, v7, s16, v77
	v_add_f16_e32 v96, v98, v96
	v_fma_f16 v93, v18, s0, -v92
	v_fma_f16 v92, v18, s0, v92
	v_mul_f16_sdwa v86, v9, s31 dst_sel:DWORD dst_unused:UNUSED_PAD src0_sel:WORD_1 src1_sel:DWORD
	v_add_f16_e32 v70, v70, v71
	v_fma_f16 v71, v75, s1, -v78
	v_add_f16_e32 v92, v92, v96
	v_fma_f16 v88, v21, s7, -v86
	v_fma_f16 v86, v21, s7, v86
	v_mul_f16_sdwa v76, v8, s21 dst_sel:DWORD dst_unused:UNUSED_PAD src0_sel:WORD_1 src1_sel:DWORD
	v_add_f16_e32 v71, v71, v26
	v_mul_f16_sdwa v26, v6, s22 dst_sel:DWORD dst_unused:UNUSED_PAD src0_sel:WORD_1 src1_sel:DWORD
	v_add_f16_e32 v86, v86, v92
	v_fma_f16 v84, v10, s6, -v76
	v_fma_f16 v76, v10, s6, v76
	v_add_f16_e32 v39, v39, v42
	v_mul_f16_sdwa v42, v4, s26 dst_sel:DWORD dst_unused:UNUSED_PAD src0_sel:WORD_1 src1_sel:DWORD
	v_fma_f16 v73, v7, s0, -v26
	v_add_f16_e32 v76, v76, v86
	v_fma_f16 v44, v11, s17, -v42
	v_fma_f16 v42, v11, s17, v42
	v_add_f16_e32 v73, v73, v27
	v_mul_f16_e32 v27, 0xbbf7, v6
	v_add_f16_e32 v42, v42, v76
	v_fma_f16 v76, v75, s0, v27
	v_fma_f16 v26, v7, s0, v26
	v_add_f16_e32 v33, v76, v33
	v_add_f16_e32 v76, v26, v28
	v_mul_f16_sdwa v26, v6, s31 dst_sel:DWORD dst_unused:UNUSED_PAD src0_sel:WORD_1 src1_sel:DWORD
	v_fma_f16 v28, v7, s7, -v26
	v_add_f16_e32 v31, v28, v31
	v_mul_f16_e32 v28, 0x3a62, v6
	v_fma_f16 v26, v7, s7, v26
	v_add_f16_e32 v29, v26, v29
	v_fma_f16 v26, v75, s7, -v28
	v_add_f16_e32 v30, v26, v30
	v_mul_f16_sdwa v26, v6, s21 dst_sel:DWORD dst_unused:UNUSED_PAD src0_sel:WORD_1 src1_sel:DWORD
	v_fma_f16 v77, v75, s7, v28
	v_fma_f16 v28, v7, s6, -v26
	v_add_f16_e32 v34, v28, v34
	v_mul_f16_e32 v28, 0xb5c8, v6
	v_fma_f16 v26, v7, s6, v26
	v_add_f16_e32 v32, v26, v32
	v_fma_f16 v26, v75, s6, -v28
	v_add_f16_e32 v35, v26, v35
	v_mul_f16_sdwa v26, v6, s26 dst_sel:DWORD dst_unused:UNUSED_PAD src0_sel:WORD_1 src1_sel:DWORD
	v_add_f16_e32 v41, v77, v41
	v_fma_f16 v77, v75, s6, v28
	v_fma_f16 v28, v7, s17, -v26
	v_add_f16_e32 v93, v93, v97
	v_add_f16_e32 v40, v28, v40
	v_mul_f16_e32 v28, 0xb1e1, v6
	v_fma_f16 v26, v7, s17, v26
	v_add_f16_e32 v88, v88, v93
	v_add_f16_e32 v36, v26, v36
	v_fma_f16 v26, v75, s17, -v28
	v_add_f16_e32 v84, v84, v88
	v_add_f16_e32 v39, v26, v39
	v_mul_f16_sdwa v26, v6, s28 dst_sel:DWORD dst_unused:UNUSED_PAD src0_sel:WORD_1 src1_sel:DWORD
	v_add_f16_sdwa v19, v0, v19 dst_sel:DWORD dst_unused:UNUSED_PAD src0_sel:WORD_1 src1_sel:DWORD
	v_add_f16_e32 v44, v44, v84
	v_add_f16_e32 v67, v77, v67
	v_fma_f16 v77, v75, s17, v28
	v_fma_f16 v28, v7, s2, -v26
	v_add_f16_e32 v19, v20, v19
	v_add_f16_e32 v44, v28, v44
	v_mul_f16_e32 v28, 0x3964, v6
	v_fma_f16 v26, v7, s2, v26
	v_add_f16_e32 v19, v22, v19
	v_mul_f16_sdwa v22, v3, s25 dst_sel:DWORD dst_unused:UNUSED_PAD src0_sel:WORD_1 src1_sel:DWORD
	v_add_f16_e32 v72, v77, v72
	v_fma_f16 v77, v75, s2, v28
	v_add_f16_e32 v42, v26, v42
	v_fma_f16 v26, v75, s2, -v28
	v_fma_f16 v28, v43, s16, -v22
	v_add_f16_e32 v19, v37, v19
	v_add_f16_e32 v37, v28, v73
	v_mul_f16_e32 v28, 0xbacd, v79
	v_add_f16_e32 v19, v38, v19
	v_fma_f16 v38, v3, s25, v28
	v_add_f16_e32 v38, v38, v33
	v_mul_f16_sdwa v33, v3, s28 dst_sel:DWORD dst_unused:UNUSED_PAD src0_sel:WORD_1 src1_sel:DWORD
	v_add_f16_e32 v19, v68, v19
	v_fma_f16 v68, v43, s2, -v33
	v_add_f16_e32 v69, v26, v69
	v_fma_f16 v26, v43, s17, v80
	v_add_f16_e32 v68, v68, v31
	v_mul_f16_e32 v31, 0x3964, v3
	v_add_f16_e32 v26, v26, v70
	v_fma_f16 v70, v79, s2, v31
	v_fma_f16 v31, v79, s2, -v31
	v_fma_f16 v33, v43, s2, v33
	v_add_f16_e32 v30, v31, v30
	v_mul_f16_sdwa v31, v3, s20 dst_sel:DWORD dst_unused:UNUSED_PAD src0_sel:WORD_1 src1_sel:DWORD
	v_add_f16_e32 v29, v33, v29
	v_fma_f16 v33, v43, s7, -v31
	v_add_f16_e32 v41, v70, v41
	v_add_f16_e32 v70, v33, v34
	v_mul_f16_e32 v33, 0xba62, v3
	v_fma_f16 v31, v43, s7, v31
	v_fma_f16 v34, v79, s7, v33
	v_add_f16_e32 v31, v31, v32
	v_fma_f16 v32, v79, s7, -v33
	v_mul_f16_sdwa v33, v3, s27 dst_sel:DWORD dst_unused:UNUSED_PAD src0_sel:WORD_1 src1_sel:DWORD
	v_add_f16_sdwa v91, v0, v91 dst_sel:DWORD dst_unused:UNUSED_PAD src0_sel:WORD_1 src1_sel:DWORD
	v_add_f16_e32 v67, v34, v67
	v_fma_f16 v34, v43, s1, -v33
	v_add_f16_e32 v91, v100, v91
	v_add_f16_e32 v40, v34, v40
	v_mul_f16_e32 v34, 0x3b29, v3
	v_add_f16_e32 v91, v95, v91
	v_fma_f16 v20, v79, s6, -v82
	v_add_f16_e32 v32, v32, v35
	v_fma_f16 v35, v79, s1, v34
	v_add_f16_e32 v90, v90, v91
	v_add_f16_e32 v20, v20, v71
	;; [unrolled: 1-line block ×3, first 2 shown]
	v_fma_f16 v33, v43, s1, v33
	v_mul_f16_sdwa v35, v3, s19 dst_sel:DWORD dst_unused:UNUSED_PAD src0_sel:WORD_1 src1_sel:DWORD
	v_add_f16_e32 v87, v87, v90
	v_add_f16_e32 v33, v33, v36
	v_fma_f16 v34, v79, s1, -v34
	v_fma_f16 v36, v43, s3, -v35
	v_add_f16_e32 v83, v83, v87
	v_add_f16_e32 v34, v34, v39
	;; [unrolled: 1-line block ×3, first 2 shown]
	v_mul_f16_e32 v44, 0xbbb2, v3
	v_add_f16_e32 v77, v77, v83
	v_fma_f16 v36, v79, s3, v44
	v_pack_b32_f16 v41, v68, v41
	v_pack_b32_f16 v37, v37, v38
	v_add_f16_e32 v72, v36, v77
	ds_write2_b32 v66, v37, v41 offset0:3 offset1:4
	v_pack_b32_f16 v37, v40, v71
	v_pack_b32_f16 v38, v70, v67
	ds_write2_b32 v66, v38, v37 offset0:5 offset1:6
	v_pack_b32_f16 v37, v39, v72
	v_pk_mul_f16 v12, v12, s17 op_sel_hi:[1,0]
	ds_write2_b32 v66, v23, v37 offset1:7
	v_pk_fma_f16 v23, v1, s26, v12 op_sel:[0,0,1] op_sel_hi:[1,0,0] neg_lo:[1,0,0] neg_hi:[1,0,0]
	v_pk_fma_f16 v1, v1, s26, v12 op_sel:[0,0,1] op_sel_hi:[1,0,0]
	v_pk_add_f16 v23, v0, v23 op_sel:[1,0] op_sel_hi:[0,1]
	v_pk_add_f16 v0, v0, v1 op_sel:[1,0] op_sel_hi:[0,1]
	v_pk_mul_f16 v1, v14, s6 op_sel_hi:[1,0]
	v_pk_fma_f16 v12, v13, s30, v1 op_sel:[0,0,1] op_sel_hi:[1,0,0] neg_lo:[1,0,0] neg_hi:[1,0,0]
	v_pk_fma_f16 v1, v13, s30, v1 op_sel:[0,0,1] op_sel_hi:[1,0,0]
	v_pk_add_f16 v0, v1, v0
	v_pk_mul_f16 v1, v18, s16 op_sel_hi:[1,0]
	v_pk_fma_f16 v13, v15, s25, v1 op_sel:[0,0,1] op_sel_hi:[1,0,0] neg_lo:[1,0,0] neg_hi:[1,0,0]
	v_pk_fma_f16 v1, v15, s25, v1 op_sel:[0,0,1] op_sel_hi:[1,0,0]
	v_pk_add_f16 v12, v12, v23
	v_pk_add_f16 v0, v1, v0
	v_pk_mul_f16 v1, v21, s2 op_sel_hi:[1,0]
	v_pk_add_f16 v12, v13, v12
	v_pk_fma_f16 v13, v9, s28, v1 op_sel:[0,0,1] op_sel_hi:[1,0,0] neg_lo:[1,0,0] neg_hi:[1,0,0]
	v_pk_fma_f16 v1, v9, s28, v1 op_sel:[0,0,1] op_sel_hi:[1,0,0]
	v_pk_add_f16 v0, v1, v0
	v_pk_mul_f16 v1, v10, s7 op_sel_hi:[1,0]
	v_pk_fma_f16 v9, v8, s20, v1 op_sel:[0,0,1] op_sel_hi:[1,0,0] neg_lo:[1,0,0] neg_hi:[1,0,0]
	v_pk_fma_f16 v1, v8, s20, v1 op_sel:[0,0,1] op_sel_hi:[1,0,0]
	v_pk_add_f16 v0, v1, v0
	v_pk_mul_f16 v1, v11, s1 op_sel_hi:[1,0]
	v_pk_fma_f16 v8, v4, s27, v1 op_sel:[0,0,1] op_sel_hi:[1,0,0] neg_lo:[1,0,0] neg_hi:[1,0,0]
	v_pk_fma_f16 v1, v4, s27, v1 op_sel:[0,0,1] op_sel_hi:[1,0,0]
	v_pk_add_f16 v12, v13, v12
	v_pk_add_f16 v0, v1, v0
	v_pk_mul_f16 v1, v7, s3 op_sel_hi:[1,0]
	v_pk_add_f16 v9, v9, v12
	v_pk_fma_f16 v4, v6, s19, v1 op_sel:[0,0,1] op_sel_hi:[1,0,0] neg_lo:[1,0,0] neg_hi:[1,0,0]
	v_pk_fma_f16 v1, v6, s19, v1 op_sel:[0,0,1] op_sel_hi:[1,0,0]
	v_pk_add_f16 v8, v8, v9
	v_pk_add_f16 v0, v1, v0
	v_pk_mul_f16 v1, v43, s0 op_sel_hi:[1,0]
	v_fma_f16 v35, v43, s3, v35
	v_pk_add_f16 v4, v4, v8
	v_pk_fma_f16 v6, v3, s24, v1 op_sel:[0,0,1] op_sel_hi:[1,0,0] neg_lo:[1,0,0] neg_hi:[1,0,0]
	v_pk_fma_f16 v1, v3, s24, v1 op_sel:[0,0,1] op_sel_hi:[1,0,0]
	v_add_f16_e32 v36, v35, v42
	v_fma_f16 v35, v79, s3, -v44
	v_pk_add_f16 v4, v6, v4
	v_pk_add_f16 v0, v1, v0
	v_add_f16_e32 v42, v35, v69
	v_alignbit_b32 v1, v4, v0, 16
	v_alignbit_b32 v0, v0, v4, 16
	ds_write2_b32 v66, v0, v1 offset0:8 offset1:9
	v_pack_b32_f16 v0, v33, v34
	v_pack_b32_f16 v1, v36, v42
	v_fma_f16 v27, v75, s0, -v27
	v_pk_mul_f16 v35, v3, s29
	ds_write2_b32 v66, v1, v0 offset0:10 offset1:11
	v_pack_b32_f16 v0, v29, v30
	v_pack_b32_f16 v1, v31, v32
	v_mul_f16_e32 v44, 0xb836, v3
	ds_write2_b32 v66, v1, v0 offset0:12 offset1:13
	v_pack_b32_f16 v0, v27, v2
	v_bfi_b32 v1, s18, v25, v35
	v_pk_add_f16 v0, v0, v1
	v_bfi_b32 v1, s18, v44, v24
	v_pk_add_f16 v1, v28, v1 neg_lo:[0,1] neg_hi:[0,1]
	v_pk_add_f16 v2, v5, v24
	v_fma_f16 v22, v43, s16, v22
	v_bfi_b32 v1, s18, v1, v2
	v_add_f16_e32 v19, v74, v19
	v_add_f16_e32 v22, v22, v76
	v_pk_add_f16 v0, v1, v0
	v_add_f16_e32 v19, v81, v19
	v_alignbit_b32 v1, v20, v0, 16
	v_pack_b32_f16 v0, v22, v0
	ds_write2_b32 v66, v0, v1 offset0:14 offset1:15
	v_pack_b32_f16 v0, v26, v19
	s_movk_i32 s18, 0xf1
	ds_write_b32 v66, v0 offset:64
	v_mul_lo_u16_sdwa v0, v61, s18 dst_sel:DWORD dst_unused:UNUSED_PAD src0_sel:BYTE_0 src1_sel:DWORD
	v_lshrrev_b16_e32 v18, 12, v0
	v_mul_lo_u16_e32 v0, 17, v18
	v_sub_u16_e32 v0, v61, v0
	v_and_b32_e32 v19, 0xff, v0
	v_lshlrev_b32_e32 v12, 6, v19
	s_waitcnt lgkmcnt(0)
	; wave barrier
	s_waitcnt lgkmcnt(0)
	global_load_dwordx4 v[0:3], v12, s[14:15]
	global_load_dwordx4 v[4:7], v12, s[14:15] offset:48
	ds_read2_b32 v[20:21], v45 offset1:51
	ds_read_b32 v22, v45 offset:3264
	global_load_dwordx4 v[8:11], v12, s[14:15] offset:16
	v_mul_u32_u24_e32 v18, 0x121, v18
	s_waitcnt lgkmcnt(1)
	v_lshrrev_b32_e32 v13, 16, v21
	s_waitcnt lgkmcnt(0)
	v_lshrrev_b32_e32 v23, 16, v22
	s_waitcnt vmcnt(2)
	v_mul_f16_sdwa v14, v13, v0 dst_sel:DWORD dst_unused:UNUSED_PAD src0_sel:DWORD src1_sel:WORD_1
	v_fma_f16 v24, v21, v0, -v14
	v_mul_f16_sdwa v14, v21, v0 dst_sel:DWORD dst_unused:UNUSED_PAD src0_sel:DWORD src1_sel:WORD_1
	v_fma_f16 v21, v13, v0, v14
	global_load_dwordx4 v[12:15], v12, s[14:15] offset:32
	s_waitcnt vmcnt(2)
	v_mul_f16_sdwa v25, v23, v7 dst_sel:DWORD dst_unused:UNUSED_PAD src0_sel:DWORD src1_sel:WORD_1
	v_fma_f16 v43, v22, v7, -v25
	v_mul_f16_sdwa v22, v22, v7 dst_sel:DWORD dst_unused:UNUSED_PAD src0_sel:DWORD src1_sel:WORD_1
	v_fma_f16 v44, v23, v7, v22
	v_sub_f16_e32 v26, v21, v44
	v_add_f16_e32 v22, v24, v43
	v_sub_f16_e32 v25, v24, v43
	v_mul_f16_e32 v27, 0xb5c8, v26
	v_mul_f16_e32 v31, 0xb964, v26
	;; [unrolled: 1-line block ×8, first 2 shown]
	v_add_f16_e32 v23, v21, v44
	v_fma_f16 v28, v22, s6, -v27
	v_fma_f16 v27, v22, s6, v27
	v_fma_f16 v32, v22, s2, -v31
	v_fma_f16 v31, v22, s2, v31
	;; [unrolled: 2-line block ×8, first 2 shown]
	v_mul_f16_e32 v22, 0xb836, v25
	v_fma_f16 v78, v23, s16, v22
	v_fma_f16 v22, v23, s16, -v22
	v_add_f16_sdwa v81, v20, v21 dst_sel:DWORD dst_unused:UNUSED_PAD src0_sel:WORD_1 src1_sel:DWORD
	v_add_f16_sdwa v98, v20, v22 dst_sel:DWORD dst_unused:UNUSED_PAD src0_sel:WORD_1 src1_sel:DWORD
	ds_read2_b32 v[21:22], v45 offset0:102 offset1:153
	v_mul_f16_e32 v29, 0xb5c8, v25
	v_mul_f16_e32 v33, 0xb964, v25
	;; [unrolled: 1-line block ×7, first 2 shown]
	v_fma_f16 v30, v23, s6, v29
	v_fma_f16 v29, v23, s6, -v29
	v_fma_f16 v34, v23, s2, v33
	v_fma_f16 v33, v23, s2, -v33
	;; [unrolled: 2-line block ×7, first 2 shown]
	v_add_f16_e32 v80, v20, v24
	v_add_f16_e32 v82, v20, v28
	v_add_f16_sdwa v83, v20, v30 dst_sel:DWORD dst_unused:UNUSED_PAD src0_sel:WORD_1 src1_sel:DWORD
	v_add_f16_e32 v84, v20, v27
	v_add_f16_sdwa v85, v20, v29 dst_sel:DWORD dst_unused:UNUSED_PAD src0_sel:WORD_1 src1_sel:DWORD
	;; [unrolled: 2-line block ×13, first 2 shown]
	v_add_f16_e32 v75, v20, v75
	v_add_f16_e32 v77, v20, v77
	v_add_f16_sdwa v79, v20, v79 dst_sel:DWORD dst_unused:UNUSED_PAD src0_sel:WORD_1 src1_sel:DWORD
	v_add_f16_e32 v99, v20, v26
	v_add_f16_sdwa v100, v20, v23 dst_sel:DWORD dst_unused:UNUSED_PAD src0_sel:WORD_1 src1_sel:DWORD
	s_waitcnt lgkmcnt(0)
	v_lshrrev_b32_e32 v20, 16, v21
	v_mul_f16_sdwa v23, v21, v1 dst_sel:DWORD dst_unused:UNUSED_PAD src0_sel:DWORD src1_sel:WORD_1
	v_fma_f16 v101, v20, v1, v23
	v_mul_f16_sdwa v20, v20, v1 dst_sel:DWORD dst_unused:UNUSED_PAD src0_sel:DWORD src1_sel:WORD_1
	v_fma_f16 v102, v21, v1, -v20
	ds_read2_b32 v[20:21], v45 offset0:204 offset1:255
	v_lshrrev_b32_e32 v23, 16, v22
	v_mul_f16_sdwa v24, v23, v2 dst_sel:DWORD dst_unused:UNUSED_PAD src0_sel:DWORD src1_sel:WORD_1
	v_fma_f16 v103, v22, v2, -v24
	v_mul_f16_sdwa v22, v22, v2 dst_sel:DWORD dst_unused:UNUSED_PAD src0_sel:DWORD src1_sel:WORD_1
	v_fma_f16 v104, v23, v2, v22
	s_waitcnt lgkmcnt(0)
	v_lshrrev_b32_e32 v22, 16, v20
	v_mul_f16_sdwa v23, v20, v3 dst_sel:DWORD dst_unused:UNUSED_PAD src0_sel:DWORD src1_sel:WORD_1
	v_fma_f16 v37, v22, v3, v23
	v_mul_f16_sdwa v22, v22, v3 dst_sel:DWORD dst_unused:UNUSED_PAD src0_sel:DWORD src1_sel:WORD_1
	v_fma_f16 v38, v20, v3, -v22
	ds_read2_b32 v[22:23], v64 offset0:50 offset1:101
	v_lshrrev_b32_e32 v20, 16, v21
	s_waitcnt vmcnt(1)
	v_mul_f16_sdwa v24, v20, v8 dst_sel:DWORD dst_unused:UNUSED_PAD src0_sel:DWORD src1_sel:WORD_1
	v_fma_f16 v34, v21, v8, -v24
	v_mul_f16_sdwa v21, v21, v8 dst_sel:DWORD dst_unused:UNUSED_PAD src0_sel:DWORD src1_sel:WORD_1
	v_fma_f16 v33, v20, v8, v21
	s_waitcnt lgkmcnt(0)
	v_lshrrev_b32_e32 v20, 16, v22
	v_mul_f16_sdwa v21, v22, v9 dst_sel:DWORD dst_unused:UNUSED_PAD src0_sel:DWORD src1_sel:WORD_1
	ds_read2_b32 v[27:28], v64 offset0:152 offset1:203
	v_fma_f16 v29, v20, v9, v21
	v_mul_f16_sdwa v20, v20, v9 dst_sel:DWORD dst_unused:UNUSED_PAD src0_sel:DWORD src1_sel:WORD_1
	v_fma_f16 v30, v22, v9, -v20
	v_lshrrev_b32_e32 v20, 16, v23
	v_mul_f16_sdwa v21, v20, v10 dst_sel:DWORD dst_unused:UNUSED_PAD src0_sel:DWORD src1_sel:WORD_1
	v_fma_f16 v26, v23, v10, -v21
	v_mul_f16_sdwa v21, v23, v10 dst_sel:DWORD dst_unused:UNUSED_PAD src0_sel:DWORD src1_sel:WORD_1
	v_fma_f16 v25, v20, v10, v21
	s_waitcnt lgkmcnt(0)
	v_lshrrev_b32_e32 v20, 16, v27
	v_mul_f16_sdwa v21, v27, v11 dst_sel:DWORD dst_unused:UNUSED_PAD src0_sel:DWORD src1_sel:WORD_1
	ds_read2_b32 v[35:36], v17 offset0:126 offset1:177
	v_fma_f16 v21, v20, v11, v21
	v_mul_f16_sdwa v20, v20, v11 dst_sel:DWORD dst_unused:UNUSED_PAD src0_sel:DWORD src1_sel:WORD_1
	v_fma_f16 v22, v27, v11, -v20
	v_lshrrev_b32_e32 v20, 16, v28
	s_waitcnt vmcnt(0)
	v_mul_f16_sdwa v17, v20, v12 dst_sel:DWORD dst_unused:UNUSED_PAD src0_sel:DWORD src1_sel:WORD_1
	v_fma_f16 v24, v28, v12, -v17
	v_mul_f16_sdwa v17, v28, v12 dst_sel:DWORD dst_unused:UNUSED_PAD src0_sel:DWORD src1_sel:WORD_1
	v_fma_f16 v23, v20, v12, v17
	s_waitcnt lgkmcnt(0)
	v_lshrrev_b32_e32 v17, 16, v35
	v_mul_f16_sdwa v20, v35, v13 dst_sel:DWORD dst_unused:UNUSED_PAD src0_sel:DWORD src1_sel:WORD_1
	ds_read2_b32 v[39:40], v65 offset0:100 offset1:151
	v_fma_f16 v27, v17, v13, v20
	v_mul_f16_sdwa v17, v17, v13 dst_sel:DWORD dst_unused:UNUSED_PAD src0_sel:DWORD src1_sel:WORD_1
	v_fma_f16 v28, v35, v13, -v17
	v_lshrrev_b32_e32 v17, 16, v36
	v_mul_f16_sdwa v20, v17, v14 dst_sel:DWORD dst_unused:UNUSED_PAD src0_sel:DWORD src1_sel:WORD_1
	v_fma_f16 v32, v36, v14, -v20
	v_mul_f16_sdwa v20, v36, v14 dst_sel:DWORD dst_unused:UNUSED_PAD src0_sel:DWORD src1_sel:WORD_1
	v_fma_f16 v31, v17, v14, v20
	s_waitcnt lgkmcnt(0)
	v_lshrrev_b32_e32 v17, 16, v39
	v_mul_f16_sdwa v20, v39, v15 dst_sel:DWORD dst_unused:UNUSED_PAD src0_sel:DWORD src1_sel:WORD_1
	ds_read2_b32 v[41:42], v65 offset0:202 offset1:253
	v_fma_f16 v35, v17, v15, v20
	v_mul_f16_sdwa v17, v17, v15 dst_sel:DWORD dst_unused:UNUSED_PAD src0_sel:DWORD src1_sel:WORD_1
	v_fma_f16 v36, v39, v15, -v17
	v_lshrrev_b32_e32 v17, 16, v40
	v_mul_f16_sdwa v20, v17, v4 dst_sel:DWORD dst_unused:UNUSED_PAD src0_sel:DWORD src1_sel:WORD_1
	v_fma_f16 v39, v40, v4, -v20
	v_mul_f16_sdwa v20, v40, v4 dst_sel:DWORD dst_unused:UNUSED_PAD src0_sel:DWORD src1_sel:WORD_1
	v_fma_f16 v40, v17, v4, v20
	s_waitcnt lgkmcnt(0)
	v_lshrrev_b32_e32 v17, 16, v41
	v_mul_f16_sdwa v20, v41, v5 dst_sel:DWORD dst_unused:UNUSED_PAD src0_sel:DWORD src1_sel:WORD_1
	v_fma_f16 v105, v17, v5, v20
	v_mul_f16_sdwa v17, v17, v5 dst_sel:DWORD dst_unused:UNUSED_PAD src0_sel:DWORD src1_sel:WORD_1
	v_fma_f16 v41, v41, v5, -v17
	v_lshrrev_b32_e32 v17, 16, v42
	v_mul_f16_sdwa v20, v17, v6 dst_sel:DWORD dst_unused:UNUSED_PAD src0_sel:DWORD src1_sel:WORD_1
	v_fma_f16 v106, v42, v6, -v20
	v_mul_f16_sdwa v20, v42, v6 dst_sel:DWORD dst_unused:UNUSED_PAD src0_sel:DWORD src1_sel:WORD_1
	v_fma_f16 v42, v17, v6, v20
	v_add_f16_e32 v17, v80, v102
	v_add_f16_e32 v20, v81, v101
	;; [unrolled: 1-line block ×29, first 2 shown]
	v_sub_f16_e32 v42, v101, v42
	v_add_f16_e32 v17, v17, v43
	v_add_f16_e32 v43, v102, v106
	v_mul_f16_e32 v81, 0xb964, v42
	v_add_f16_e32 v20, v20, v44
	v_sub_f16_e32 v44, v102, v106
	v_fma_f16 v101, v43, s2, -v81
	v_add_f16_e32 v82, v101, v82
	v_mul_f16_e32 v101, 0xb964, v44
	v_fma_f16 v81, v43, s2, v81
	v_add_f16_e32 v81, v81, v84
	v_fma_f16 v84, v80, s2, -v101
	v_add_f16_e32 v84, v84, v85
	v_mul_f16_e32 v85, 0xbbf7, v42
	v_fma_f16 v102, v80, s2, v101
	v_fma_f16 v101, v43, s0, -v85
	v_add_f16_e32 v86, v101, v86
	v_mul_f16_e32 v101, 0xbbf7, v44
	v_fma_f16 v85, v43, s0, v85
	v_add_f16_e32 v85, v85, v88
	v_fma_f16 v88, v80, s0, -v101
	v_add_f16_e32 v88, v88, v89
	v_mul_f16_e32 v89, 0xba62, v42
	v_add_f16_e32 v83, v102, v83
	v_fma_f16 v102, v80, s0, v101
	v_fma_f16 v101, v43, s7, -v89
	v_add_f16_e32 v90, v101, v90
	v_mul_f16_e32 v101, 0xba62, v44
	v_fma_f16 v89, v43, s7, v89
	v_add_f16_e32 v89, v89, v92
	v_fma_f16 v92, v80, s7, -v101
	v_add_f16_e32 v92, v92, v93
	v_mul_f16_e32 v93, 0xb1e1, v42
	v_add_f16_e32 v87, v102, v87
	;; [unrolled: 10-line block ×5, first 2 shown]
	v_fma_f16 v102, v80, s3, v101
	v_fma_f16 v101, v43, s1, -v97
	v_add_f16_e32 v76, v101, v76
	v_mul_f16_e32 v101, 0x3b29, v44
	v_fma_f16 v97, v43, s1, v97
	v_add_f16_e32 v75, v97, v75
	v_fma_f16 v97, v80, s1, -v101
	v_mul_f16_e32 v42, 0x35c8, v42
	v_add_f16_e32 v97, v97, v98
	v_fma_f16 v98, v43, s6, -v42
	v_mul_f16_e32 v44, 0x35c8, v44
	v_add_f16_e32 v77, v98, v77
	v_fma_f16 v98, v80, s6, v44
	v_add_f16_e32 v79, v98, v79
	v_fma_f16 v42, v43, s6, v42
	v_sub_f16_e32 v98, v104, v105
	v_add_f16_e32 v42, v42, v99
	v_fma_f16 v43, v80, s6, -v44
	v_add_f16_e32 v44, v103, v41
	v_mul_f16_e32 v99, 0xbb29, v98
	v_add_f16_e32 v43, v43, v100
	v_sub_f16_e32 v41, v103, v41
	v_fma_f16 v100, v44, s1, -v99
	v_add_f16_e32 v74, v102, v74
	v_fma_f16 v102, v80, s1, v101
	v_add_f16_e32 v80, v104, v105
	v_add_f16_e32 v82, v100, v82
	v_mul_f16_e32 v100, 0xbb29, v41
	v_fma_f16 v99, v44, s1, v99
	v_add_f16_e32 v81, v99, v81
	v_fma_f16 v99, v80, s1, -v100
	v_add_f16_e32 v84, v99, v84
	v_mul_f16_e32 v99, 0xba62, v98
	v_fma_f16 v101, v80, s1, v100
	v_fma_f16 v100, v44, s7, -v99
	v_add_f16_e32 v86, v100, v86
	v_mul_f16_e32 v100, 0xba62, v41
	v_fma_f16 v99, v44, s7, v99
	v_add_f16_e32 v85, v99, v85
	v_fma_f16 v99, v80, s7, -v100
	v_add_f16_e32 v88, v99, v88
	v_mul_f16_e32 v99, 0x31e1, v98
	v_add_f16_e32 v83, v101, v83
	v_fma_f16 v101, v80, s7, v100
	v_fma_f16 v100, v44, s17, -v99
	v_add_f16_e32 v90, v100, v90
	v_mul_f16_e32 v100, 0x31e1, v41
	v_fma_f16 v99, v44, s17, v99
	v_add_f16_e32 v89, v99, v89
	v_fma_f16 v99, v80, s17, -v100
	v_add_f16_e32 v92, v99, v92
	v_mul_f16_e32 v99, 0x3bb2, v98
	v_add_f16_e32 v87, v101, v87
	;; [unrolled: 10-line block ×5, first 2 shown]
	v_fma_f16 v101, v80, s6, v100
	v_fma_f16 v100, v44, s0, -v99
	v_add_f16_e32 v76, v100, v76
	v_mul_f16_e32 v100, 0xbbf7, v41
	v_fma_f16 v99, v44, s0, v99
	v_add_f16_e32 v75, v99, v75
	v_fma_f16 v99, v80, s0, -v100
	v_mul_f16_e32 v98, 0xb836, v98
	v_add_f16_e32 v97, v99, v97
	v_fma_f16 v99, v44, s16, -v98
	v_mul_f16_e32 v41, 0xb836, v41
	v_add_f16_e32 v77, v99, v77
	v_fma_f16 v99, v80, s16, v41
	v_fma_f16 v41, v80, s16, -v41
	v_add_f16_e32 v41, v41, v43
	v_add_f16_e32 v43, v38, v39
	v_sub_f16_e32 v38, v38, v39
	v_add_f16_e32 v39, v37, v40
	v_sub_f16_e32 v37, v37, v40
	v_fma_f16 v44, v44, s16, v98
	v_mul_f16_e32 v40, 0xbbf7, v37
	v_add_f16_e32 v74, v101, v74
	v_fma_f16 v101, v80, s0, v100
	v_add_f16_e32 v42, v44, v42
	v_fma_f16 v44, v43, s0, -v40
	v_mul_f16_e32 v80, 0xbbf7, v38
	v_fma_f16 v40, v43, s0, v40
	v_add_f16_e32 v44, v44, v82
	v_fma_f16 v82, v39, s0, v80
	v_add_f16_e32 v40, v40, v81
	v_fma_f16 v80, v39, s0, -v80
	v_mul_f16_e32 v81, 0xb1e1, v37
	v_add_f16_e32 v82, v82, v83
	v_add_f16_e32 v80, v80, v84
	v_fma_f16 v83, v43, s17, -v81
	v_mul_f16_e32 v84, 0xb1e1, v38
	v_fma_f16 v81, v43, s17, v81
	v_add_f16_e32 v83, v83, v86
	v_fma_f16 v86, v39, s17, v84
	v_add_f16_e32 v81, v81, v85
	v_fma_f16 v84, v39, s17, -v84
	v_mul_f16_e32 v85, 0x3bb2, v37
	v_add_f16_e32 v86, v86, v87
	;; [unrolled: 10-line block ×3, first 2 shown]
	v_add_f16_e32 v88, v88, v92
	v_fma_f16 v91, v43, s6, -v89
	v_mul_f16_e32 v92, 0x35c8, v38
	v_fma_f16 v89, v43, s6, v89
	v_add_f16_e32 v91, v91, v94
	v_fma_f16 v94, v39, s6, v92
	v_add_f16_e32 v89, v89, v93
	v_mul_f16_e32 v93, 0xbb29, v37
	v_add_f16_e32 v94, v94, v95
	v_fma_f16 v95, v43, s1, -v93
	v_add_f16_e32 v68, v95, v68
	v_mul_f16_e32 v95, 0xbb29, v38
	v_fma_f16 v93, v43, s1, v93
	v_add_f16_e32 v67, v93, v67
	v_fma_f16 v93, v39, s1, -v95
	v_fma_f16 v92, v39, s6, -v92
	v_add_f16_e32 v69, v93, v69
	v_mul_f16_e32 v93, 0xb836, v37
	v_add_f16_e32 v92, v92, v96
	v_fma_f16 v96, v39, s1, v95
	v_fma_f16 v95, v43, s16, -v93
	v_add_f16_e32 v72, v95, v72
	v_mul_f16_e32 v95, 0xb836, v38
	v_fma_f16 v93, v43, s16, v93
	v_add_f16_e32 v71, v93, v71
	v_fma_f16 v93, v39, s16, -v95
	v_add_f16_e32 v73, v93, v73
	v_mul_f16_e32 v93, 0x3a62, v37
	v_add_f16_e32 v70, v96, v70
	v_fma_f16 v96, v39, s16, v95
	v_fma_f16 v95, v43, s7, -v93
	v_add_f16_e32 v76, v95, v76
	v_mul_f16_e32 v95, 0x3a62, v38
	v_fma_f16 v93, v43, s7, v93
	v_mul_f16_e32 v37, 0x3964, v37
	v_add_f16_e32 v74, v96, v74
	v_fma_f16 v96, v39, s7, v95
	v_add_f16_e32 v75, v93, v75
	v_fma_f16 v93, v39, s7, -v95
	v_fma_f16 v95, v43, s2, -v37
	v_mul_f16_e32 v38, 0x3964, v38
	v_add_f16_e32 v77, v95, v77
	v_fma_f16 v95, v39, s2, v38
	v_fma_f16 v38, v39, s2, -v38
	v_add_f16_e32 v39, v34, v36
	v_sub_f16_e32 v34, v34, v36
	v_add_f16_e32 v36, v33, v35
	v_sub_f16_e32 v33, v33, v35
	v_fma_f16 v37, v43, s2, v37
	v_mul_f16_e32 v35, 0xbbb2, v33
	v_add_f16_e32 v37, v37, v42
	v_add_f16_e32 v38, v38, v41
	v_fma_f16 v41, v39, s3, -v35
	v_mul_f16_e32 v42, 0xbbb2, v34
	v_fma_f16 v35, v39, s3, v35
	v_fma_f16 v43, v36, s3, v42
	v_add_f16_e32 v35, v35, v40
	v_fma_f16 v40, v36, s3, -v42
	v_mul_f16_e32 v42, 0x3836, v33
	v_add_f16_e32 v41, v41, v44
	v_fma_f16 v44, v39, s16, -v42
	v_fma_f16 v42, v39, s16, v42
	v_add_f16_e32 v42, v42, v81
	v_mul_f16_e32 v81, 0x3964, v33
	v_add_f16_e32 v44, v44, v83
	v_fma_f16 v83, v39, s2, -v81
	v_fma_f16 v81, v39, s2, v81
	v_add_f16_e32 v81, v81, v85
	v_mul_f16_e32 v85, 0xbb29, v33
	v_add_f16_e32 v40, v40, v80
	v_mul_f16_e32 v80, 0x3836, v34
	v_add_f16_e32 v83, v83, v87
	v_fma_f16 v87, v39, s1, -v85
	v_fma_f16 v85, v39, s1, v85
	v_add_f16_e32 v43, v43, v82
	v_fma_f16 v82, v36, s16, v80
	v_fma_f16 v80, v36, s16, -v80
	v_add_f16_e32 v85, v85, v89
	v_mul_f16_e32 v89, 0xb1e1, v33
	v_add_f16_e32 v80, v80, v84
	v_mul_f16_e32 v84, 0x3964, v34
	v_add_f16_e32 v87, v87, v91
	v_fma_f16 v91, v39, s17, -v89
	v_add_f16_e32 v82, v82, v86
	v_fma_f16 v86, v36, s2, v84
	v_fma_f16 v84, v36, s2, -v84
	v_add_f16_e32 v68, v91, v68
	v_mul_f16_e32 v91, 0xb1e1, v34
	v_fma_f16 v89, v39, s17, v89
	v_add_f16_e32 v84, v84, v88
	v_mul_f16_e32 v88, 0xbb29, v34
	v_add_f16_e32 v67, v89, v67
	v_fma_f16 v89, v36, s17, -v91
	v_add_f16_e32 v86, v86, v90
	v_fma_f16 v90, v36, s1, v88
	v_fma_f16 v88, v36, s1, -v88
	v_add_f16_e32 v69, v89, v69
	v_mul_f16_e32 v89, 0x3bf7, v33
	v_add_f16_e32 v88, v88, v92
	v_fma_f16 v92, v36, s17, v91
	v_fma_f16 v91, v39, s0, -v89
	v_add_f16_e32 v72, v91, v72
	v_mul_f16_e32 v91, 0x3bf7, v34
	v_fma_f16 v89, v39, s0, v89
	v_add_f16_e32 v71, v89, v71
	v_fma_f16 v89, v36, s0, -v91
	v_add_f16_e32 v73, v89, v73
	v_mul_f16_e32 v89, 0xb5c8, v33
	v_add_f16_e32 v70, v92, v70
	v_fma_f16 v92, v36, s0, v91
	v_fma_f16 v91, v39, s6, -v89
	v_add_f16_e32 v76, v91, v76
	v_mul_f16_e32 v91, 0xb5c8, v34
	v_fma_f16 v89, v39, s6, v89
	v_mul_f16_e32 v33, 0xba62, v33
	v_add_f16_e32 v74, v92, v74
	v_fma_f16 v92, v36, s6, v91
	v_add_f16_e32 v75, v89, v75
	v_fma_f16 v89, v36, s6, -v91
	v_fma_f16 v91, v39, s7, -v33
	v_mul_f16_e32 v34, 0xba62, v34
	v_add_f16_e32 v77, v91, v77
	v_fma_f16 v91, v36, s7, v34
	v_fma_f16 v34, v36, s7, -v34
	v_add_f16_e32 v36, v30, v32
	v_sub_f16_e32 v30, v30, v32
	v_add_f16_e32 v32, v29, v31
	v_sub_f16_e32 v29, v29, v31
	v_fma_f16 v33, v39, s7, v33
	v_mul_f16_e32 v31, 0xba62, v29
	v_add_f16_e32 v33, v33, v37
	v_add_f16_e32 v34, v34, v38
	v_fma_f16 v37, v36, s7, -v31
	v_mul_f16_e32 v38, 0xba62, v30
	v_fma_f16 v31, v36, s7, v31
	v_fma_f16 v39, v32, s7, v38
	v_add_f16_e32 v31, v31, v35
	v_fma_f16 v35, v32, s7, -v38
	v_mul_f16_e32 v38, 0x3bb2, v29
	v_add_f16_e32 v35, v35, v40
	v_fma_f16 v40, v36, s3, -v38
	v_fma_f16 v38, v36, s3, v38
	v_add_f16_e32 v38, v38, v42
	v_mul_f16_e32 v42, 0xb5c8, v29
	v_add_f16_e32 v40, v40, v44
	v_fma_f16 v44, v36, s6, -v42
	v_fma_f16 v42, v36, s6, v42
	v_add_f16_e32 v42, v42, v81
	v_mul_f16_e32 v81, 0xb836, v29
	v_add_f16_e32 v37, v37, v41
	v_mul_f16_e32 v41, 0x3bb2, v30
	v_add_f16_e32 v44, v44, v83
	v_fma_f16 v83, v36, s16, -v81
	v_fma_f16 v81, v36, s16, v81
	v_add_f16_e32 v39, v39, v43
	v_fma_f16 v43, v32, s3, v41
	v_fma_f16 v41, v32, s3, -v41
	v_add_f16_e32 v81, v81, v85
	v_mul_f16_e32 v85, 0x3bf7, v29
	v_add_f16_e32 v41, v41, v80
	v_mul_f16_e32 v80, 0xb5c8, v30
	v_add_f16_e32 v83, v83, v87
	v_fma_f16 v87, v36, s0, -v85
	v_add_f16_e32 v43, v43, v82
	v_fma_f16 v82, v32, s6, v80
	v_fma_f16 v80, v32, s6, -v80
	v_add_f16_e32 v68, v87, v68
	v_mul_f16_e32 v87, 0x3bf7, v30
	v_fma_f16 v85, v36, s0, v85
	v_add_f16_e32 v80, v80, v84
	v_mul_f16_e32 v84, 0xb836, v30
	v_add_f16_e32 v67, v85, v67
	v_fma_f16 v85, v32, s0, -v87
	v_add_f16_e32 v82, v82, v86
	v_fma_f16 v86, v32, s16, v84
	v_fma_f16 v84, v32, s16, -v84
	v_add_f16_e32 v69, v85, v69
	v_mul_f16_e32 v85, 0xb964, v29
	v_add_f16_e32 v84, v84, v88
	v_fma_f16 v88, v32, s0, v87
	v_fma_f16 v87, v36, s2, -v85
	v_add_f16_e32 v72, v87, v72
	v_mul_f16_e32 v87, 0xb964, v30
	v_fma_f16 v85, v36, s2, v85
	v_add_f16_e32 v71, v85, v71
	v_fma_f16 v85, v32, s2, -v87
	v_add_f16_e32 v73, v85, v73
	v_mul_f16_e32 v85, 0xb1e1, v29
	v_add_f16_e32 v70, v88, v70
	v_fma_f16 v88, v32, s2, v87
	v_fma_f16 v87, v36, s17, -v85
	v_add_f16_e32 v76, v87, v76
	v_mul_f16_e32 v87, 0xb1e1, v30
	v_fma_f16 v85, v36, s17, v85
	v_mul_f16_e32 v29, 0x3b29, v29
	v_add_f16_e32 v74, v88, v74
	v_fma_f16 v88, v32, s17, v87
	v_add_f16_e32 v75, v85, v75
	v_fma_f16 v85, v32, s17, -v87
	v_fma_f16 v87, v36, s1, -v29
	v_mul_f16_e32 v30, 0x3b29, v30
	v_add_f16_e32 v77, v87, v77
	v_fma_f16 v87, v32, s1, v30
	v_fma_f16 v30, v32, s1, -v30
	v_add_f16_e32 v32, v26, v28
	v_sub_f16_e32 v26, v26, v28
	v_add_f16_e32 v28, v25, v27
	v_sub_f16_e32 v25, v25, v27
	v_fma_f16 v29, v36, s1, v29
	v_mul_f16_e32 v27, 0xb836, v25
	v_add_f16_e32 v29, v29, v33
	v_add_f16_e32 v30, v30, v34
	v_fma_f16 v33, v32, s16, -v27
	v_mul_f16_e32 v34, 0xb836, v26
	v_fma_f16 v27, v32, s16, v27
	v_fma_f16 v36, v28, s16, v34
	v_add_f16_e32 v27, v27, v31
	v_fma_f16 v31, v28, s16, -v34
	v_mul_f16_e32 v34, 0x3b29, v25
	v_add_f16_e32 v31, v31, v35
	v_fma_f16 v35, v32, s1, -v34
	v_fma_f16 v34, v32, s1, v34
	v_add_f16_e32 v34, v34, v38
	v_mul_f16_e32 v38, 0xbbf7, v25
	v_add_f16_e32 v33, v33, v37
	v_add_f16_e32 v35, v35, v40
	v_mul_f16_e32 v37, 0x3b29, v26
	v_fma_f16 v40, v32, s0, -v38
	v_fma_f16 v38, v32, s0, v38
	v_add_f16_e32 v36, v36, v39
	v_fma_f16 v39, v28, s1, v37
	v_fma_f16 v37, v28, s1, -v37
	v_add_f16_e32 v38, v38, v42
	v_mul_f16_e32 v42, 0x3a62, v25
	v_add_f16_e32 v37, v37, v41
	v_add_f16_e32 v40, v40, v44
	v_mul_f16_e32 v41, 0xbbf7, v26
	v_fma_f16 v44, v32, s7, -v42
	v_fma_f16 v42, v32, s7, v42
	v_add_f16_e32 v39, v39, v43
	v_fma_f16 v43, v28, s0, v41
	v_fma_f16 v41, v28, s0, -v41
	v_add_f16_e32 v42, v42, v81
	v_mul_f16_e32 v81, 0xb5c8, v25
	v_add_f16_e32 v41, v41, v80
	v_add_f16_e32 v44, v44, v83
	v_mul_f16_e32 v80, 0x3a62, v26
	v_fma_f16 v83, v32, s6, -v81
	v_add_f16_e32 v43, v43, v82
	v_fma_f16 v82, v28, s7, v80
	v_fma_f16 v80, v28, s7, -v80
	v_add_f16_e32 v83, v83, v68
	v_mul_f16_e32 v68, 0xb5c8, v26
	v_add_f16_e32 v80, v80, v84
	v_fma_f16 v84, v28, s6, v68
	v_fma_f16 v68, v28, s6, -v68
	v_add_f16_e32 v84, v84, v70
	v_fma_f16 v70, v32, s6, v81
	v_add_f16_e32 v81, v68, v69
	v_mul_f16_e32 v68, 0xb1e1, v25
	v_add_f16_e32 v90, v90, v94
	v_fma_f16 v69, v32, s17, -v68
	v_add_f16_e32 v86, v86, v90
	v_add_f16_e32 v72, v69, v72
	v_mul_f16_e32 v69, 0xb1e1, v26
	v_fma_f16 v68, v32, s17, v68
	v_add_f16_e32 v82, v82, v86
	v_add_f16_e32 v86, v68, v71
	v_fma_f16 v68, v28, s17, -v69
	v_add_f16_e32 v73, v68, v73
	v_mul_f16_e32 v68, 0x3964, v25
	v_add_f16_e32 v78, v102, v78
	v_add_f16_e32 v93, v93, v97
	;; [unrolled: 1-line block ×3, first 2 shown]
	v_fma_f16 v70, v28, s17, v69
	v_fma_f16 v69, v32, s2, -v68
	v_add_f16_e32 v78, v101, v78
	v_add_f16_e32 v89, v89, v93
	;; [unrolled: 1-line block ×3, first 2 shown]
	v_mul_f16_e32 v69, 0x3964, v26
	v_fma_f16 v68, v32, s2, v68
	v_add_f16_e32 v79, v99, v79
	v_add_f16_e32 v78, v96, v78
	;; [unrolled: 1-line block ×4, first 2 shown]
	v_fma_f16 v68, v28, s2, -v69
	v_mul_f16_e32 v25, 0xbbb2, v25
	v_add_f16_e32 v79, v95, v79
	v_add_f16_e32 v78, v92, v78
	;; [unrolled: 1-line block ×3, first 2 shown]
	v_fma_f16 v68, v32, s3, -v25
	v_mul_f16_e32 v26, 0xbbb2, v26
	v_fma_f16 v25, v32, s3, v25
	v_add_f16_e32 v79, v91, v79
	v_add_f16_e32 v78, v88, v78
	;; [unrolled: 1-line block ×3, first 2 shown]
	v_fma_f16 v25, v28, s3, -v26
	v_sub_f16_e32 v88, v21, v23
	v_add_f16_e32 v79, v87, v79
	v_add_f16_e32 v74, v70, v74
	v_fma_f16 v70, v28, s2, v69
	v_add_f16_e32 v77, v68, v77
	v_fma_f16 v68, v28, s3, v26
	v_add_f16_e32 v28, v25, v30
	v_add_f16_e32 v30, v22, v24
	;; [unrolled: 1-line block ×3, first 2 shown]
	v_mul_f16_e32 v21, 0xb1e1, v88
	v_sub_f16_e32 v32, v22, v24
	v_fma_f16 v22, v30, s17, -v21
	v_add_f16_e32 v33, v22, v33
	v_mul_f16_e32 v22, 0xb1e1, v32
	v_fma_f16 v21, v30, s17, v21
	v_add_f16_e32 v78, v70, v78
	v_add_f16_e32 v70, v21, v27
	v_fma_f16 v21, v87, s17, -v22
	v_add_f16_e32 v71, v21, v31
	v_mul_f16_e32 v21, 0x35c8, v88
	v_fma_f16 v23, v87, s17, v22
	v_fma_f16 v22, v30, s6, -v21
	v_add_f16_e32 v27, v22, v35
	v_mul_f16_e32 v22, 0x35c8, v32
	v_fma_f16 v21, v30, s6, v21
	v_add_f16_e32 v79, v68, v79
	v_add_f16_e32 v68, v21, v34
	v_fma_f16 v21, v87, s6, -v22
	v_add_f16_e32 v69, v21, v37
	v_mul_f16_e32 v21, 0xb836, v88
	v_add_f16_e32 v36, v23, v36
	v_fma_f16 v23, v87, s6, v22
	v_fma_f16 v22, v30, s16, -v21
	v_add_f16_e32 v34, v22, v40
	v_mul_f16_e32 v22, 0xb836, v32
	v_add_f16_e32 v31, v23, v39
	v_fma_f16 v23, v87, s16, v22
	v_add_f16_e32 v35, v23, v43
	v_mul_f16_e32 v23, 0x3964, v88
	v_fma_f16 v24, v30, s2, -v23
	v_add_f16_e32 v37, v24, v44
	v_mul_f16_e32 v24, 0x3964, v32
	v_fma_f16 v21, v30, s16, v21
	v_fma_f16 v25, v87, s2, v24
	v_add_f16_e32 v21, v21, v38
	v_fma_f16 v22, v87, s16, -v22
	v_add_f16_e32 v38, v25, v82
	v_mul_f16_e32 v25, 0xba62, v88
	v_add_f16_e32 v22, v22, v41
	v_fma_f16 v23, v30, s2, v23
	v_fma_f16 v26, v30, s7, -v25
	v_fma_f16 v25, v30, s7, v25
	v_mul_f16_e32 v41, 0x3b29, v88
	v_mul_f16_e32 v43, 0x3b29, v32
	v_add_f16_e32 v23, v23, v42
	v_add_f16_e32 v25, v25, v67
	v_fma_f16 v42, v30, s1, -v41
	v_fma_f16 v44, v87, s1, v43
	v_fma_f16 v43, v87, s1, -v43
	v_mul_f16_e32 v67, 0xbbb2, v88
	v_add_f16_e32 v42, v42, v72
	v_add_f16_e32 v43, v43, v73
	v_fma_f16 v72, v30, s3, -v67
	v_mul_f16_e32 v73, 0xbbb2, v32
	v_fma_f16 v67, v30, s3, v67
	v_add_f16_e32 v75, v67, v75
	v_fma_f16 v67, v87, s3, -v73
	v_add_f16_e32 v39, v26, v83
	v_mul_f16_e32 v26, 0xba62, v32
	v_add_f16_e32 v44, v44, v74
	v_fma_f16 v74, v87, s3, v73
	v_add_f16_e32 v73, v67, v85
	v_mul_f16_e32 v67, 0x3bf7, v88
	v_fma_f16 v40, v87, s7, v26
	v_fma_f16 v41, v30, s1, v41
	v_add_f16_e32 v72, v72, v76
	v_fma_f16 v76, v30, s0, -v67
	v_fma_f16 v30, v30, s0, v67
	v_add_lshl_u32 v67, v18, v19, 2
	v_pack_b32_f16 v17, v17, v20
	v_pack_b32_f16 v18, v33, v36
	v_add_f16_e32 v40, v40, v84
	v_mul_f16_e32 v32, 0x3bf7, v32
	s_waitcnt lgkmcnt(0)
	; wave barrier
	ds_write2_b32 v67, v17, v18 offset1:17
	v_pack_b32_f16 v17, v27, v31
	v_pack_b32_f16 v18, v34, v35
	v_add_f16_e32 v74, v74, v78
	v_add_f16_e32 v76, v76, v77
	v_fma_f16 v77, v87, s0, v32
	v_add_f16_e32 v29, v30, v29
	v_fma_f16 v30, v87, s0, -v32
	ds_write2_b32 v67, v17, v18 offset0:34 offset1:51
	v_pack_b32_f16 v17, v37, v38
	v_pack_b32_f16 v18, v39, v40
	v_add_f16_e32 v77, v77, v79
	v_add_f16_e32 v28, v30, v28
	ds_write2_b32 v67, v17, v18 offset0:68 offset1:85
	v_pack_b32_f16 v17, v42, v44
	v_pack_b32_f16 v18, v72, v74
	v_fma_f16 v24, v87, s2, -v24
	v_fma_f16 v26, v87, s7, -v26
	v_add_f16_e32 v41, v41, v86
	ds_write2_b32 v67, v17, v18 offset0:102 offset1:119
	v_pack_b32_f16 v17, v76, v77
	v_pack_b32_f16 v18, v29, v28
	v_add_f16_e32 v24, v24, v80
	v_add_f16_e32 v26, v26, v81
	ds_write2_b32 v67, v17, v18 offset0:136 offset1:153
	v_pack_b32_f16 v17, v75, v73
	v_pack_b32_f16 v18, v41, v43
	ds_write2_b32 v67, v17, v18 offset0:170 offset1:187
	v_pack_b32_f16 v17, v25, v26
	v_pack_b32_f16 v18, v23, v24
	;; [unrolled: 3-line block ×3, first 2 shown]
	ds_write2_b32 v67, v17, v18 offset0:238 offset1:255
	v_pack_b32_f16 v17, v70, v71
	ds_write_b32 v67, v17 offset:1088
	v_add_u32_e32 v17, 0x200, v45
	s_waitcnt lgkmcnt(0)
	; wave barrier
	s_waitcnt lgkmcnt(0)
	ds_read2_b32 v[35:36], v45 offset1:51
	ds_read2_b32 v[31:32], v17 offset0:76 offset1:161
	ds_read2_b32 v[43:44], v65 offset0:66 offset1:117
	ds_read2_b32 v[41:42], v64 offset0:84 offset1:135
	ds_read2_b32 v[33:34], v45 offset0:102 offset1:153
	ds_read2_b32 v[39:40], v65 offset0:168 offset1:219
	ds_read2_b32 v[37:38], v64 offset0:186 offset1:237
	ds_read_b32 v72, v45 offset:3128
	s_load_dwordx2 s[2:3], s[4:5], 0x38
	v_mov_b32_e32 v17, s13
	v_add_co_u32_e32 v29, vcc, s12, v45
	v_addc_co_u32_e32 v30, vcc, 0, v17, vcc
	v_cmp_gt_u16_e64 s[0:1], 34, v61
                                        ; implicit-def: $vgpr73
                                        ; implicit-def: $vgpr74
	s_and_saveexec_b64 s[4:5], s[0:1]
	s_cbranch_execz .LBB0_3
; %bb.2:
	ds_read_b32 v68, v45 offset:1020
	ds_read_b32 v70, v45 offset:2176
	;; [unrolled: 1-line block ×3, first 2 shown]
	s_waitcnt lgkmcnt(0)
	v_lshrrev_b32_e32 v69, 16, v68
	v_lshrrev_b32_e32 v71, 16, v70
	;; [unrolled: 1-line block ×3, first 2 shown]
.LBB0_3:
	s_or_b64 exec, exec, s[4:5]
	v_lshlrev_b32_e32 v17, 3, v61
	v_add_u32_e32 v18, 0x198, v17
	global_load_dwordx2 v[19:20], v17, s[14:15] offset:1088
	global_load_dwordx2 v[21:22], v18, s[14:15] offset:1088
	v_add_u32_e32 v18, 0x330, v17
	global_load_dwordx2 v[23:24], v18, s[14:15] offset:1088
	v_add_u32_e32 v18, 0x4c8, v17
	v_add_u32_e32 v17, 0x660, v17
	global_load_dwordx2 v[25:26], v18, s[14:15] offset:1088
	global_load_dwordx2 v[27:28], v17, s[14:15] offset:1088
	v_add_co_u32_e32 v17, vcc, 0xff, v61
	s_movk_i32 s6, 0xffde
	v_addc_co_u32_e64 v18, s[4:5], 0, 0, vcc
	v_add_co_u32_e32 v76, vcc, s6, v61
	v_addc_co_u32_e64 v77, s[4:5], 0, -1, vcc
	v_cndmask_b32_e64 v18, v77, v18, s[0:1]
	v_cndmask_b32_e64 v17, v76, v17, s[0:1]
	v_lshlrev_b64 v[17:18], 3, v[17:18]
	v_mov_b32_e32 v75, s15
	v_add_co_u32_e32 v17, vcc, s14, v17
	v_addc_co_u32_e32 v18, vcc, v75, v18, vcc
	global_load_dwordx2 v[17:18], v[17:18], off offset:1088
	s_waitcnt lgkmcnt(0)
	v_lshrrev_b32_e32 v77, 16, v43
	v_lshrrev_b32_e32 v76, 16, v32
	;; [unrolled: 1-line block ×8, first 2 shown]
	s_movk_i32 s4, 0x3aee
	s_mov_b32 s5, 0xbaee
	v_lshrrev_b32_e32 v78, 16, v36
	v_lshrrev_b32_e32 v82, 16, v42
	;; [unrolled: 1-line block ×7, first 2 shown]
	s_waitcnt vmcnt(5)
	v_mul_f16_sdwa v92, v77, v20 dst_sel:DWORD dst_unused:UNUSED_PAD src0_sel:DWORD src1_sel:WORD_1
	v_mul_f16_sdwa v90, v76, v19 dst_sel:DWORD dst_unused:UNUSED_PAD src0_sel:DWORD src1_sel:WORD_1
	;; [unrolled: 1-line block ×3, first 2 shown]
	v_fma_f16 v43, v43, v20, -v92
	s_waitcnt vmcnt(4)
	v_mul_f16_sdwa v92, v80, v22 dst_sel:DWORD dst_unused:UNUSED_PAD src0_sel:DWORD src1_sel:WORD_1
	v_mul_f16_sdwa v91, v32, v19 dst_sel:DWORD dst_unused:UNUSED_PAD src0_sel:DWORD src1_sel:WORD_1
	s_waitcnt vmcnt(2)
	v_mul_f16_sdwa v98, v85, v25 dst_sel:DWORD dst_unused:UNUSED_PAD src0_sel:DWORD src1_sel:WORD_1
	v_fma_f16 v90, v32, v19, -v90
	v_fma_f16 v77, v77, v20, v93
	v_mul_f16_sdwa v32, v79, v21 dst_sel:DWORD dst_unused:UNUSED_PAD src0_sel:DWORD src1_sel:WORD_1
	v_mul_f16_sdwa v93, v44, v22 dst_sel:DWORD dst_unused:UNUSED_PAD src0_sel:DWORD src1_sel:WORD_1
	;; [unrolled: 1-line block ×3, first 2 shown]
	s_waitcnt vmcnt(1)
	v_mul_f16_sdwa v102, v88, v27 dst_sel:DWORD dst_unused:UNUSED_PAD src0_sel:DWORD src1_sel:WORD_1
	v_fma_f16 v44, v44, v22, -v92
	v_fma_f16 v92, v37, v25, -v98
	v_fma_f16 v76, v76, v19, v91
	v_mul_f16_sdwa v91, v41, v21 dst_sel:DWORD dst_unused:UNUSED_PAD src0_sel:DWORD src1_sel:WORD_1
	v_mul_f16_sdwa v103, v38, v27 dst_sel:DWORD dst_unused:UNUSED_PAD src0_sel:DWORD src1_sel:WORD_1
	v_fma_f16 v41, v41, v21, -v32
	v_fma_f16 v80, v80, v22, v93
	v_fma_f16 v93, v38, v27, -v102
	v_mul_f16_sdwa v96, v83, v24 dst_sel:DWORD dst_unused:UNUSED_PAD src0_sel:DWORD src1_sel:WORD_1
	v_mul_f16_sdwa v97, v39, v24 dst_sel:DWORD dst_unused:UNUSED_PAD src0_sel:DWORD src1_sel:WORD_1
	v_fma_f16 v79, v79, v21, v91
	v_fma_f16 v91, v39, v24, -v96
	s_waitcnt vmcnt(0)
	v_mul_f16_sdwa v37, v70, v17 dst_sel:DWORD dst_unused:UNUSED_PAD src0_sel:DWORD src1_sel:WORD_1
	v_mul_f16_sdwa v32, v71, v17 dst_sel:DWORD dst_unused:UNUSED_PAD src0_sel:DWORD src1_sel:WORD_1
	v_fma_f16 v38, v71, v17, v37
	v_add_f16_e32 v71, v90, v43
	v_fma_f16 v32, v70, v17, -v32
	v_mul_f16_sdwa v37, v74, v18 dst_sel:DWORD dst_unused:UNUSED_PAD src0_sel:DWORD src1_sel:WORD_1
	v_add_f16_e32 v70, v35, v90
	v_fma_f16 v35, v71, -0.5, v35
	v_sub_f16_e32 v71, v76, v77
	v_fma_f16 v37, v73, v18, -v37
	v_mul_f16_sdwa v39, v73, v18 dst_sel:DWORD dst_unused:UNUSED_PAD src0_sel:DWORD src1_sel:WORD_1
	v_fma_f16 v73, v71, s4, v35
	v_fma_f16 v71, v71, s5, v35
	v_add_f16_e32 v35, v75, v76
	v_fma_f16 v39, v74, v18, v39
	v_add_f16_e32 v74, v35, v77
	v_add_f16_e32 v35, v76, v77
	;; [unrolled: 1-line block ×3, first 2 shown]
	v_fma_f16 v35, v35, -0.5, v75
	v_sub_f16_e32 v43, v90, v43
	v_fma_f16 v75, v43, s5, v35
	v_fma_f16 v43, v43, s4, v35
	v_add_f16_e32 v35, v36, v41
	v_add_f16_e32 v76, v35, v44
	;; [unrolled: 1-line block ×3, first 2 shown]
	v_fma_f16 v35, v35, -0.5, v36
	v_sub_f16_e32 v36, v79, v80
	v_mul_f16_sdwa v94, v82, v23 dst_sel:DWORD dst_unused:UNUSED_PAD src0_sel:DWORD src1_sel:WORD_1
	v_fma_f16 v77, v36, s4, v35
	v_fma_f16 v90, v36, s5, v35
	v_add_f16_e32 v35, v78, v79
	v_mul_f16_sdwa v95, v42, v23 dst_sel:DWORD dst_unused:UNUSED_PAD src0_sel:DWORD src1_sel:WORD_1
	v_fma_f16 v42, v42, v23, -v94
	v_add_f16_e32 v94, v35, v80
	v_add_f16_e32 v35, v79, v80
	v_fma_f16 v35, v35, -0.5, v78
	v_sub_f16_e32 v36, v41, v44
	v_fma_f16 v41, v36, s5, v35
	v_fma_f16 v44, v36, s4, v35
	v_add_f16_e32 v35, v33, v42
	v_fma_f16 v82, v82, v23, v95
	v_fma_f16 v83, v83, v24, v97
	v_add_f16_e32 v78, v35, v91
	v_add_f16_e32 v35, v42, v91
	v_fma_f16 v33, v35, -0.5, v33
	v_sub_f16_e32 v35, v82, v83
	v_fma_f16 v79, v35, s4, v33
	v_fma_f16 v80, v35, s5, v33
	v_add_f16_e32 v33, v81, v82
	v_add_f16_e32 v95, v33, v83
	;; [unrolled: 1-line block ×3, first 2 shown]
	v_mul_f16_sdwa v100, v86, v26 dst_sel:DWORD dst_unused:UNUSED_PAD src0_sel:DWORD src1_sel:WORD_1
	v_fma_f16 v33, v33, -0.5, v81
	v_sub_f16_e32 v35, v42, v91
	v_mul_f16_sdwa v101, v40, v26 dst_sel:DWORD dst_unused:UNUSED_PAD src0_sel:DWORD src1_sel:WORD_1
	v_fma_f16 v40, v40, v26, -v100
	v_fma_f16 v42, v35, s5, v33
	v_fma_f16 v81, v35, s4, v33
	v_add_f16_e32 v33, v34, v92
	v_fma_f16 v85, v85, v25, v99
	v_fma_f16 v86, v86, v26, v101
	v_add_f16_e32 v82, v33, v40
	v_add_f16_e32 v33, v92, v40
	v_fma_f16 v33, v33, -0.5, v34
	v_sub_f16_e32 v34, v85, v86
	v_fma_f16 v83, v34, s4, v33
	v_fma_f16 v91, v34, s5, v33
	v_add_f16_e32 v33, v84, v85
	v_add_f16_e32 v96, v33, v86
	;; [unrolled: 1-line block ×3, first 2 shown]
	v_mul_f16_sdwa v104, v89, v28 dst_sel:DWORD dst_unused:UNUSED_PAD src0_sel:DWORD src1_sel:WORD_1
	v_fma_f16 v33, v33, -0.5, v84
	v_sub_f16_e32 v34, v92, v40
	v_mul_f16_sdwa v105, v72, v28 dst_sel:DWORD dst_unused:UNUSED_PAD src0_sel:DWORD src1_sel:WORD_1
	v_fma_f16 v72, v72, v28, -v104
	v_fma_f16 v84, v34, s5, v33
	v_fma_f16 v85, v34, s4, v33
	v_add_f16_e32 v33, v31, v93
	v_fma_f16 v88, v88, v27, v103
	v_fma_f16 v89, v89, v28, v105
	v_add_f16_e32 v86, v33, v72
	v_add_f16_e32 v33, v93, v72
	v_fma_f16 v31, v33, -0.5, v31
	v_sub_f16_e32 v33, v88, v89
	v_pack_b32_f16 v43, v71, v43
	v_fma_f16 v92, v33, s4, v31
	v_fma_f16 v97, v33, s5, v31
	v_add_f16_e32 v31, v87, v88
	v_pack_b32_f16 v70, v70, v74
	v_pack_b32_f16 v73, v73, v75
	ds_write_b32 v45, v43 offset:2312
	v_pack_b32_f16 v43, v76, v94
	v_pack_b32_f16 v41, v77, v41
	;; [unrolled: 1-line block ×3, first 2 shown]
	v_add_f16_e32 v98, v31, v89
	v_add_f16_e32 v31, v88, v89
	ds_write_b32 v45, v73 offset:1156
	ds_write2_b32 v45, v70, v43 offset1:51
	v_pack_b32_f16 v43, v90, v44
	ds_write2_b32 v64, v41, v42 offset0:84 offset1:135
	v_pack_b32_f16 v41, v80, v81
	v_fma_f16 v31, v31, -0.5, v87
	v_sub_f16_e32 v33, v93, v72
	v_pack_b32_f16 v44, v78, v95
	ds_write2_b32 v65, v43, v41 offset0:117 offset1:168
	v_pack_b32_f16 v41, v82, v96
	v_pack_b32_f16 v42, v91, v85
	v_fma_f16 v72, v33, s5, v31
	v_fma_f16 v87, v33, s4, v31
	v_add_f16_e32 v31, v32, v37
	v_add_f16_e32 v34, v38, v39
	ds_write2_b32 v45, v44, v41 offset0:102 offset1:153
	ds_write_b32 v45, v42 offset:2924
	v_pack_b32_f16 v42, v86, v98
	v_fma_f16 v31, v31, -0.5, v68
	v_sub_f16_e32 v35, v38, v39
	v_fma_f16 v36, v34, -0.5, v69
	v_sub_f16_e32 v40, v32, v37
	v_pack_b32_f16 v41, v83, v84
	ds_write_b32 v45, v42 offset:816
	v_pack_b32_f16 v42, v92, v72
	v_fma_f16 v33, v35, s5, v31
	v_fma_f16 v34, v40, s4, v36
	ds_write2_b32 v64, v41, v42 offset0:186 offset1:237
	v_pack_b32_f16 v41, v97, v87
	ds_write_b32 v45, v41 offset:3128
	s_and_saveexec_b64 s[4:5], s[0:1]
	s_cbranch_execz .LBB0_5
; %bb.4:
	v_mul_f16_e32 v35, 0x3aee, v35
	v_mul_f16_e32 v40, 0x3aee, v40
	v_sub_f16_e32 v36, v36, v40
	v_add_f16_e32 v38, v69, v38
	v_add_f16_e32 v31, v35, v31
	v_add_f16_e32 v32, v68, v32
	v_add_f16_e32 v38, v38, v39
	v_add_f16_e32 v32, v32, v37
	v_pack_b32_f16 v31, v31, v36
	s_mov_b32 s6, 0x5040100
	v_pack_b32_f16 v32, v32, v38
	ds_write_b32 v45, v31 offset:2176
	v_perm_b32 v31, v34, v33, s6
	ds_write_b32 v45, v32 offset:1020
	ds_write_b32 v45, v31 offset:3332
.LBB0_5:
	s_or_b64 exec, exec, s[4:5]
	s_waitcnt lgkmcnt(0)
	; wave barrier
	s_waitcnt lgkmcnt(0)
	global_load_dword v31, v[29:30], off offset:3468
	s_add_u32 s4, s12, 0xd8c
	s_addc_u32 s5, s13, 0
	global_load_dword v32, v45, s[4:5] offset:204
	global_load_dword v36, v45, s[4:5] offset:408
	;; [unrolled: 1-line block ×10, first 2 shown]
	ds_read2_b32 v[29:30], v45 offset1:51
	global_load_dword v73, v45, s[4:5] offset:2244
	global_load_dword v74, v45, s[4:5] offset:2652
	;; [unrolled: 1-line block ×6, first 2 shown]
	v_add_u32_e32 v35, 0x400, v45
	v_add_u32_e32 v37, 0x600, v45
	s_mov_b32 s19, 0xb5c8
	s_waitcnt lgkmcnt(0)
	v_lshrrev_b32_e32 v38, 16, v29
	v_lshrrev_b32_e32 v39, 16, v30
	s_movk_i32 s20, 0x3b76
	s_mov_b32 s33, 0xffff
	s_mov_b32 s14, 0xb964
	s_movk_i32 s15, 0x39e9
	s_movk_i32 s16, 0x3964
	s_mov_b32 s7, 0xbb29
	s_movk_i32 s12, 0x3722
	s_movk_i32 s13, 0x3b29
	s_mov_b32 s4, 0xbbf7
	s_movk_i32 s5, 0x2de8
	s_movk_i32 s6, 0x3bf7
	s_mov_b32 s17, 0xbbb2
	s_mov_b32 s18, 0xb461
	s_movk_i32 s21, 0x3bb2
	s_mov_b32 s22, 0xba62
	s_mov_b32 s23, 0xb8d2
	s_movk_i32 s24, 0x3a62
	s_mov_b32 s26, 0xbacd
	s_movk_i32 s27, 0x3836
	s_mov_b32 s28, 0xb1e1
	s_mov_b32 s29, 0xbbdd
	s_movk_i32 s30, 0x31e1
	s_movk_i32 s31, 0x35c8
	s_waitcnt vmcnt(16)
	v_mul_f16_sdwa v40, v38, v31 dst_sel:DWORD dst_unused:UNUSED_PAD src0_sel:DWORD src1_sel:WORD_1
	v_mul_f16_sdwa v41, v29, v31 dst_sel:DWORD dst_unused:UNUSED_PAD src0_sel:DWORD src1_sel:WORD_1
	v_fma_f16 v29, v29, v31, -v40
	v_fma_f16 v31, v38, v31, v41
	v_pack_b32_f16 v29, v29, v31
	s_waitcnt vmcnt(15)
	v_mul_f16_sdwa v31, v39, v32 dst_sel:DWORD dst_unused:UNUSED_PAD src0_sel:DWORD src1_sel:WORD_1
	v_mul_f16_sdwa v38, v30, v32 dst_sel:DWORD dst_unused:UNUSED_PAD src0_sel:DWORD src1_sel:WORD_1
	v_fma_f16 v30, v30, v32, -v31
	v_fma_f16 v31, v39, v32, v38
	v_pack_b32_f16 v30, v30, v31
	ds_write2_b32 v45, v29, v30 offset1:51
	ds_read2_b32 v[29:30], v45 offset0:102 offset1:153
	ds_read2_b32 v[31:32], v45 offset0:204 offset1:255
	;; [unrolled: 1-line block ×5, first 2 shown]
	ds_read_b32 v79, v45 offset:3264
	s_waitcnt lgkmcnt(5)
	v_lshrrev_b32_e32 v80, 16, v29
	s_waitcnt vmcnt(14)
	v_mul_f16_sdwa v81, v29, v36 dst_sel:DWORD dst_unused:UNUSED_PAD src0_sel:DWORD src1_sel:WORD_1
	v_lshrrev_b32_e32 v82, 16, v30
	s_waitcnt vmcnt(13)
	v_mul_f16_sdwa v83, v30, v44 dst_sel:DWORD dst_unused:UNUSED_PAD src0_sel:DWORD src1_sel:WORD_1
	s_waitcnt lgkmcnt(4)
	v_lshrrev_b32_e32 v84, 16, v31
	s_waitcnt vmcnt(12)
	v_mul_f16_sdwa v85, v31, v64 dst_sel:DWORD dst_unused:UNUSED_PAD src0_sel:DWORD src1_sel:WORD_1
	v_lshrrev_b32_e32 v86, 16, v32
	s_waitcnt vmcnt(11)
	v_mul_f16_sdwa v87, v32, v65 dst_sel:DWORD dst_unused:UNUSED_PAD src0_sel:DWORD src1_sel:WORD_1
	;; [unrolled: 7-line block ×3, first 2 shown]
	s_waitcnt lgkmcnt(2)
	v_lshrrev_b32_e32 v92, 16, v40
	s_waitcnt vmcnt(8)
	v_mul_f16_sdwa v93, v40, v70 dst_sel:DWORD dst_unused:UNUSED_PAD src0_sel:DWORD src1_sel:WORD_1
	v_lshrrev_b32_e32 v94, 16, v41
	v_mul_f16_sdwa v97, v80, v36 dst_sel:DWORD dst_unused:UNUSED_PAD src0_sel:DWORD src1_sel:WORD_1
	v_fma_f16 v80, v80, v36, v81
	v_mul_f16_sdwa v81, v82, v44 dst_sel:DWORD dst_unused:UNUSED_PAD src0_sel:DWORD src1_sel:WORD_1
	s_waitcnt vmcnt(7)
	v_mul_f16_sdwa v95, v41, v71 dst_sel:DWORD dst_unused:UNUSED_PAD src0_sel:DWORD src1_sel:WORD_1
	v_fma_f16 v82, v82, v44, v83
	v_mul_f16_sdwa v83, v84, v64 dst_sel:DWORD dst_unused:UNUSED_PAD src0_sel:DWORD src1_sel:WORD_1
	v_fma_f16 v84, v84, v64, v85
	;; [unrolled: 2-line block ×6, first 2 shown]
	v_mul_f16_sdwa v93, v94, v71 dst_sel:DWORD dst_unused:UNUSED_PAD src0_sel:DWORD src1_sel:WORD_1
	v_fma_f16 v29, v29, v36, -v97
	v_fma_f16 v30, v30, v44, -v81
	s_waitcnt lgkmcnt(1)
	v_lshrrev_b32_e32 v96, 16, v42
	v_fma_f16 v94, v94, v71, v95
	v_fma_f16 v31, v31, v64, -v83
	v_fma_f16 v32, v32, v65, -v85
	;; [unrolled: 1-line block ×6, first 2 shown]
	v_pack_b32_f16 v29, v29, v80
	v_pack_b32_f16 v30, v30, v82
	;; [unrolled: 1-line block ×8, first 2 shown]
	ds_write2_b32 v45, v29, v30 offset0:102 offset1:153
	ds_write2_b32 v45, v31, v32 offset0:204 offset1:255
	;; [unrolled: 1-line block ×4, first 2 shown]
	s_waitcnt vmcnt(6)
	v_mul_f16_sdwa v29, v96, v72 dst_sel:DWORD dst_unused:UNUSED_PAD src0_sel:DWORD src1_sel:WORD_1
	v_mul_f16_sdwa v30, v42, v72 dst_sel:DWORD dst_unused:UNUSED_PAD src0_sel:DWORD src1_sel:WORD_1
	v_fma_f16 v29, v42, v72, -v29
	v_fma_f16 v30, v96, v72, v30
	v_lshrrev_b32_e32 v32, 16, v43
	v_pack_b32_f16 v31, v29, v30
	s_waitcnt vmcnt(5)
	v_mul_f16_sdwa v29, v32, v73 dst_sel:DWORD dst_unused:UNUSED_PAD src0_sel:DWORD src1_sel:WORD_1
	v_add_u32_e32 v36, 0x800, v45
	v_fma_f16 v38, v43, v73, -v29
	ds_read2_b32 v[29:30], v36 offset0:100 offset1:151
	v_mul_f16_sdwa v39, v43, v73 dst_sel:DWORD dst_unused:UNUSED_PAD src0_sel:DWORD src1_sel:WORD_1
	v_fma_f16 v32, v32, v73, v39
	v_pack_b32_f16 v32, v38, v32
	ds_write2_b32 v37, v31, v32 offset0:126 offset1:177
	s_waitcnt lgkmcnt(1)
	v_lshrrev_b32_e32 v31, 16, v29
	s_waitcnt vmcnt(3)
	v_mul_f16_sdwa v32, v31, v75 dst_sel:DWORD dst_unused:UNUSED_PAD src0_sel:DWORD src1_sel:WORD_1
	v_fma_f16 v32, v29, v75, -v32
	v_mul_f16_sdwa v29, v29, v75 dst_sel:DWORD dst_unused:UNUSED_PAD src0_sel:DWORD src1_sel:WORD_1
	v_lshrrev_b32_e32 v38, 16, v30
	v_fma_f16 v29, v31, v75, v29
	v_mul_f16_sdwa v31, v38, v74 dst_sel:DWORD dst_unused:UNUSED_PAD src0_sel:DWORD src1_sel:WORD_1
	v_pack_b32_f16 v29, v32, v29
	v_fma_f16 v39, v30, v74, -v31
	ds_read2_b32 v[31:32], v36 offset0:202 offset1:253
	v_mul_f16_sdwa v30, v30, v74 dst_sel:DWORD dst_unused:UNUSED_PAD src0_sel:DWORD src1_sel:WORD_1
	v_fma_f16 v30, v38, v74, v30
	v_pack_b32_f16 v30, v39, v30
	ds_write2_b32 v36, v29, v30 offset0:100 offset1:151
	s_waitcnt lgkmcnt(1)
	v_lshrrev_b32_e32 v29, 16, v31
	s_waitcnt vmcnt(2)
	v_mul_f16_sdwa v30, v29, v76 dst_sel:DWORD dst_unused:UNUSED_PAD src0_sel:DWORD src1_sel:WORD_1
	v_fma_f16 v30, v31, v76, -v30
	v_mul_f16_sdwa v31, v31, v76 dst_sel:DWORD dst_unused:UNUSED_PAD src0_sel:DWORD src1_sel:WORD_1
	v_fma_f16 v29, v29, v76, v31
	v_pack_b32_f16 v29, v30, v29
	v_lshrrev_b32_e32 v30, 16, v32
	s_waitcnt vmcnt(1)
	v_mul_f16_sdwa v31, v30, v77 dst_sel:DWORD dst_unused:UNUSED_PAD src0_sel:DWORD src1_sel:WORD_1
	v_fma_f16 v31, v32, v77, -v31
	v_mul_f16_sdwa v32, v32, v77 dst_sel:DWORD dst_unused:UNUSED_PAD src0_sel:DWORD src1_sel:WORD_1
	v_fma_f16 v30, v30, v77, v32
	v_pack_b32_f16 v30, v31, v30
	ds_write2_b32 v36, v29, v30 offset0:202 offset1:253
	v_lshrrev_b32_e32 v29, 16, v79
	s_waitcnt vmcnt(0)
	v_mul_f16_sdwa v30, v29, v78 dst_sel:DWORD dst_unused:UNUSED_PAD src0_sel:DWORD src1_sel:WORD_1
	v_mul_f16_sdwa v31, v79, v78 dst_sel:DWORD dst_unused:UNUSED_PAD src0_sel:DWORD src1_sel:WORD_1
	v_fma_f16 v30, v79, v78, -v30
	v_fma_f16 v29, v29, v78, v31
	v_pack_b32_f16 v29, v30, v29
	ds_write_b32 v45, v29 offset:3264
	s_waitcnt lgkmcnt(0)
	; wave barrier
	s_waitcnt lgkmcnt(0)
	ds_read2_b32 v[29:30], v45 offset1:51
	ds_read2_b32 v[64:65], v35 offset0:50 offset1:101
	ds_read2_b32 v[31:32], v35 offset0:152 offset1:203
	ds_read2_b32 v[68:69], v37 offset0:126 offset1:177
	ds_read2_b32 v[70:71], v36 offset0:100 offset1:151
	ds_read2_b32 v[43:44], v45 offset0:102 offset1:153
	ds_read2_b32 v[72:73], v36 offset0:202 offset1:253
	ds_read2_b32 v[74:75], v45 offset0:204 offset1:255
	ds_read_b32 v38, v45 offset:3264
	s_waitcnt lgkmcnt(8)
	v_pk_add_f16 v39, v29, v30
	s_waitcnt lgkmcnt(3)
	v_pk_add_f16 v39, v39, v43
	v_pk_add_f16 v39, v39, v44
	s_waitcnt lgkmcnt(1)
	v_pk_add_f16 v39, v39, v74
	v_pk_add_f16 v39, v39, v75
	;; [unrolled: 1-line block ×12, first 2 shown]
	s_waitcnt lgkmcnt(0)
	v_pk_add_f16 v41, v39, v38
	v_pk_add_f16 v39, v30, v38 neg_lo:[0,1] neg_hi:[0,1]
	v_pk_add_f16 v40, v38, v30
	v_pk_mul_f16 v38, v39, s19 op_sel_hi:[1,0]
	v_pk_fma_f16 v30, v40, s20, v38 op_sel:[0,0,1] op_sel_hi:[1,0,0]
	v_pk_fma_f16 v38, v40, s20, v38 op_sel:[0,0,1] op_sel_hi:[1,0,0] neg_lo:[0,0,1] neg_hi:[0,0,1]
	v_bfi_b32 v42, s33, v30, v38
	v_pk_add_f16 v76, v29, v42
	v_mul_f16_sdwa v42, v39, s14 dst_sel:DWORD dst_unused:UNUSED_PAD src0_sel:WORD_1 src1_sel:DWORD
	v_fma_f16 v77, v40, s15, v42
	v_mul_f16_sdwa v78, v40, s15 dst_sel:DWORD dst_unused:UNUSED_PAD src0_sel:WORD_1 src1_sel:DWORD
	v_fma_f16 v42, v40, s15, -v42
	v_add_f16_e32 v80, v29, v42
	v_fma_f16 v42, v39, s14, v78
	v_fma_f16 v79, v39, s16, v78
	v_add_f16_sdwa v78, v29, v42 dst_sel:DWORD dst_unused:UNUSED_PAD src0_sel:WORD_1 src1_sel:DWORD
	v_mul_f16_sdwa v42, v39, s7 dst_sel:DWORD dst_unused:UNUSED_PAD src0_sel:WORD_1 src1_sel:DWORD
	v_fma_f16 v81, v40, s12, v42
	v_mul_f16_sdwa v82, v40, s12 dst_sel:DWORD dst_unused:UNUSED_PAD src0_sel:WORD_1 src1_sel:DWORD
	v_fma_f16 v42, v40, s12, -v42
	v_add_f16_e32 v84, v29, v42
	v_fma_f16 v42, v39, s7, v82
	v_fma_f16 v83, v39, s13, v82
	v_add_f16_sdwa v82, v29, v42 dst_sel:DWORD dst_unused:UNUSED_PAD src0_sel:WORD_1 src1_sel:DWORD
	;; [unrolled: 8-line block ×5, first 2 shown]
	v_mul_f16_sdwa v42, v39, s25 dst_sel:DWORD dst_unused:UNUSED_PAD src0_sel:WORD_1 src1_sel:DWORD
	v_fma_f16 v97, v40, s26, v42
	v_mul_f16_sdwa v98, v40, s26 dst_sel:DWORD dst_unused:UNUSED_PAD src0_sel:WORD_1 src1_sel:DWORD
	v_fma_f16 v42, v40, s26, -v42
	v_pk_add_f16 v101, v73, v43
	v_pk_add_f16 v73, v43, v73 neg_lo:[0,1] neg_hi:[0,1]
	v_add_f16_e32 v100, v29, v42
	v_fma_f16 v42, v39, s25, v98
	v_pk_mul_f16 v43, v73, s14 op_sel_hi:[1,0]
	v_fma_f16 v99, v39, s27, v98
	v_add_f16_sdwa v98, v29, v42 dst_sel:DWORD dst_unused:UNUSED_PAD src0_sel:WORD_1 src1_sel:DWORD
	v_pk_fma_f16 v42, v101, s15, v43 op_sel:[0,0,1] op_sel_hi:[1,0,0]
	v_pk_fma_f16 v43, v101, s15, v43 op_sel:[0,0,1] op_sel_hi:[1,0,0] neg_lo:[0,0,1] neg_hi:[0,0,1]
	v_bfi_b32 v102, s33, v42, v43
	v_pk_add_f16 v76, v102, v76
	v_mul_f16_sdwa v102, v73, s4 dst_sel:DWORD dst_unused:UNUSED_PAD src0_sel:WORD_1 src1_sel:DWORD
	v_add_f16_e32 v77, v29, v77
	v_fma_f16 v103, v101, s5, v102
	v_add_f16_e32 v77, v103, v77
	v_mul_f16_sdwa v103, v101, s5 dst_sel:DWORD dst_unused:UNUSED_PAD src0_sel:WORD_1 src1_sel:DWORD
	v_fma_f16 v102, v101, s5, -v102
	v_add_f16_e32 v80, v102, v80
	v_fma_f16 v102, v73, s4, v103
	v_add_f16_e32 v78, v102, v78
	v_mul_f16_sdwa v102, v73, s22 dst_sel:DWORD dst_unused:UNUSED_PAD src0_sel:WORD_1 src1_sel:DWORD
	v_add_f16_e32 v81, v29, v81
	v_fma_f16 v104, v73, s6, v103
	v_fma_f16 v103, v101, s23, v102
	v_add_f16_e32 v81, v103, v81
	v_mul_f16_sdwa v103, v101, s23 dst_sel:DWORD dst_unused:UNUSED_PAD src0_sel:WORD_1 src1_sel:DWORD
	v_fma_f16 v102, v101, s23, -v102
	v_add_f16_e32 v84, v102, v84
	v_fma_f16 v102, v73, s22, v103
	v_add_f16_sdwa v79, v29, v79 dst_sel:DWORD dst_unused:UNUSED_PAD src0_sel:WORD_1 src1_sel:DWORD
	v_add_f16_e32 v82, v102, v82
	v_mul_f16_sdwa v102, v73, s28 dst_sel:DWORD dst_unused:UNUSED_PAD src0_sel:WORD_1 src1_sel:DWORD
	v_add_f16_e32 v85, v29, v85
	v_add_f16_e32 v79, v104, v79
	v_fma_f16 v104, v73, s24, v103
	v_fma_f16 v103, v101, s29, v102
	v_add_f16_e32 v85, v103, v85
	v_mul_f16_sdwa v103, v101, s29 dst_sel:DWORD dst_unused:UNUSED_PAD src0_sel:WORD_1 src1_sel:DWORD
	v_fma_f16 v102, v101, s29, -v102
	v_add_f16_e32 v88, v102, v88
	v_fma_f16 v102, v73, s28, v103
	v_add_f16_sdwa v83, v29, v83 dst_sel:DWORD dst_unused:UNUSED_PAD src0_sel:WORD_1 src1_sel:DWORD
	v_add_f16_e32 v86, v102, v86
	v_mul_f16_sdwa v102, v73, s27 dst_sel:DWORD dst_unused:UNUSED_PAD src0_sel:WORD_1 src1_sel:DWORD
	v_add_f16_e32 v89, v29, v89
	;; [unrolled: 12-line block ×4, first 2 shown]
	v_add_f16_e32 v91, v104, v91
	v_fma_f16 v104, v73, s17, v103
	v_fma_f16 v103, v101, s12, v102
	v_add_f16_e32 v97, v103, v97
	v_mul_f16_sdwa v103, v101, s12 dst_sel:DWORD dst_unused:UNUSED_PAD src0_sel:WORD_1 src1_sel:DWORD
	v_fma_f16 v102, v101, s12, -v102
	v_add_f16_e32 v100, v102, v100
	v_fma_f16 v102, v73, s13, v103
	v_add_f16_e32 v98, v102, v98
	v_pk_add_f16 v102, v72, v44
	v_pk_add_f16 v44, v44, v72 neg_lo:[0,1] neg_hi:[0,1]
	v_add_f16_sdwa v95, v29, v95 dst_sel:DWORD dst_unused:UNUSED_PAD src0_sel:WORD_1 src1_sel:DWORD
	v_pk_mul_f16 v72, v44, s7 op_sel_hi:[1,0]
	v_add_f16_sdwa v99, v29, v99 dst_sel:DWORD dst_unused:UNUSED_PAD src0_sel:WORD_1 src1_sel:DWORD
	v_add_f16_e32 v95, v104, v95
	v_fma_f16 v104, v73, s7, v103
	v_pk_fma_f16 v103, v102, s12, v72 op_sel:[0,0,1] op_sel_hi:[1,0,0]
	v_pk_fma_f16 v72, v102, s12, v72 op_sel:[0,0,1] op_sel_hi:[1,0,0] neg_lo:[0,0,1] neg_hi:[0,0,1]
	v_add_f16_e32 v99, v104, v99
	v_bfi_b32 v104, s33, v103, v72
	v_pk_add_f16 v76, v104, v76
	v_mul_f16_sdwa v104, v44, s22 dst_sel:DWORD dst_unused:UNUSED_PAD src0_sel:WORD_1 src1_sel:DWORD
	v_fma_f16 v105, v102, s23, v104
	v_add_f16_e32 v77, v105, v77
	v_mul_f16_sdwa v105, v102, s23 dst_sel:DWORD dst_unused:UNUSED_PAD src0_sel:WORD_1 src1_sel:DWORD
	v_fma_f16 v104, v102, s23, -v104
	v_add_f16_e32 v80, v104, v80
	v_fma_f16 v104, v44, s22, v105
	v_add_f16_e32 v78, v104, v78
	v_mul_f16_sdwa v104, v44, s30 dst_sel:DWORD dst_unused:UNUSED_PAD src0_sel:WORD_1 src1_sel:DWORD
	v_fma_f16 v106, v44, s24, v105
	v_fma_f16 v105, v102, s29, v104
	v_add_f16_e32 v81, v105, v81
	v_mul_f16_sdwa v105, v102, s29 dst_sel:DWORD dst_unused:UNUSED_PAD src0_sel:WORD_1 src1_sel:DWORD
	v_fma_f16 v104, v102, s29, -v104
	v_add_f16_e32 v84, v104, v84
	v_fma_f16 v104, v44, s30, v105
	v_add_f16_e32 v82, v104, v82
	v_mul_f16_sdwa v104, v44, s21 dst_sel:DWORD dst_unused:UNUSED_PAD src0_sel:WORD_1 src1_sel:DWORD
	v_add_f16_e32 v79, v106, v79
	v_fma_f16 v106, v44, s28, v105
	v_fma_f16 v105, v102, s18, v104
	v_add_f16_e32 v85, v105, v85
	v_mul_f16_sdwa v105, v102, s18 dst_sel:DWORD dst_unused:UNUSED_PAD src0_sel:WORD_1 src1_sel:DWORD
	v_fma_f16 v104, v102, s18, -v104
	v_add_f16_e32 v88, v104, v88
	v_fma_f16 v104, v44, s21, v105
	v_add_f16_e32 v86, v104, v86
	v_mul_f16_sdwa v104, v44, s16 dst_sel:DWORD dst_unused:UNUSED_PAD src0_sel:WORD_1 src1_sel:DWORD
	v_add_f16_e32 v83, v106, v83
	;; [unrolled: 10-line block ×4, first 2 shown]
	v_fma_f16 v106, v44, s31, v105
	v_fma_f16 v105, v102, s5, v104
	v_add_f16_e32 v97, v105, v97
	v_mul_f16_sdwa v105, v102, s5 dst_sel:DWORD dst_unused:UNUSED_PAD src0_sel:WORD_1 src1_sel:DWORD
	v_fma_f16 v104, v102, s5, -v104
	v_add_f16_e32 v100, v104, v100
	v_fma_f16 v104, v44, s4, v105
	v_add_f16_e32 v98, v104, v98
	v_pk_add_f16 v104, v71, v74
	v_pk_add_f16 v71, v74, v71 neg_lo:[0,1] neg_hi:[0,1]
	v_pk_mul_f16 v74, v71, s4 op_sel_hi:[1,0]
	v_add_f16_e32 v95, v106, v95
	v_fma_f16 v106, v44, s6, v105
	v_pk_fma_f16 v105, v104, s5, v74 op_sel:[0,0,1] op_sel_hi:[1,0,0]
	v_pk_fma_f16 v74, v104, s5, v74 op_sel:[0,0,1] op_sel_hi:[1,0,0] neg_lo:[0,0,1] neg_hi:[0,0,1]
	v_add_f16_e32 v99, v106, v99
	v_bfi_b32 v106, s33, v105, v74
	v_pk_add_f16 v76, v106, v76
	v_mul_f16_sdwa v106, v71, s28 dst_sel:DWORD dst_unused:UNUSED_PAD src0_sel:WORD_1 src1_sel:DWORD
	v_fma_f16 v107, v104, s29, v106
	v_add_f16_e32 v77, v107, v77
	v_mul_f16_sdwa v107, v104, s29 dst_sel:DWORD dst_unused:UNUSED_PAD src0_sel:WORD_1 src1_sel:DWORD
	v_fma_f16 v106, v104, s29, -v106
	v_add_f16_e32 v80, v106, v80
	v_fma_f16 v106, v71, s28, v107
	v_add_f16_e32 v78, v106, v78
	v_mul_f16_sdwa v106, v71, s21 dst_sel:DWORD dst_unused:UNUSED_PAD src0_sel:WORD_1 src1_sel:DWORD
	v_fma_f16 v108, v71, s30, v107
	v_fma_f16 v107, v104, s18, v106
	v_add_f16_e32 v81, v107, v81
	v_mul_f16_sdwa v107, v104, s18 dst_sel:DWORD dst_unused:UNUSED_PAD src0_sel:WORD_1 src1_sel:DWORD
	v_fma_f16 v106, v104, s18, -v106
	v_add_f16_e32 v84, v106, v84
	v_fma_f16 v106, v71, s21, v107
	v_add_f16_e32 v82, v106, v82
	v_mul_f16_sdwa v106, v71, s31 dst_sel:DWORD dst_unused:UNUSED_PAD src0_sel:WORD_1 src1_sel:DWORD
	v_add_f16_e32 v79, v108, v79
	v_fma_f16 v108, v71, s17, v107
	v_fma_f16 v107, v104, s20, v106
	v_add_f16_e32 v85, v107, v85
	v_mul_f16_sdwa v107, v104, s20 dst_sel:DWORD dst_unused:UNUSED_PAD src0_sel:WORD_1 src1_sel:DWORD
	v_fma_f16 v106, v104, s20, -v106
	v_add_f16_e32 v88, v106, v88
	v_fma_f16 v106, v71, s31, v107
	v_add_f16_e32 v86, v106, v86
	v_mul_f16_sdwa v106, v71, s7 dst_sel:DWORD dst_unused:UNUSED_PAD src0_sel:WORD_1 src1_sel:DWORD
	v_add_f16_e32 v83, v108, v83
	;; [unrolled: 10-line block ×4, first 2 shown]
	v_fma_f16 v108, v71, s27, v107
	v_fma_f16 v107, v104, s23, v106
	v_add_f16_e32 v97, v107, v97
	v_mul_f16_sdwa v107, v104, s23 dst_sel:DWORD dst_unused:UNUSED_PAD src0_sel:WORD_1 src1_sel:DWORD
	v_fma_f16 v106, v104, s23, -v106
	v_add_f16_e32 v100, v106, v100
	v_fma_f16 v106, v71, s24, v107
	v_add_f16_e32 v98, v106, v98
	v_pk_add_f16 v106, v70, v75
	v_pk_add_f16 v70, v75, v70 neg_lo:[0,1] neg_hi:[0,1]
	v_pk_mul_f16 v75, v70, s17 op_sel_hi:[1,0]
	v_add_f16_e32 v95, v108, v95
	v_fma_f16 v108, v71, s22, v107
	v_pk_fma_f16 v107, v106, s18, v75 op_sel:[0,0,1] op_sel_hi:[1,0,0]
	v_pk_fma_f16 v75, v106, s18, v75 op_sel:[0,0,1] op_sel_hi:[1,0,0] neg_lo:[0,0,1] neg_hi:[0,0,1]
	v_add_f16_e32 v99, v108, v99
	v_bfi_b32 v108, s33, v107, v75
	v_pk_add_f16 v76, v108, v76
	v_mul_f16_sdwa v108, v70, s27 dst_sel:DWORD dst_unused:UNUSED_PAD src0_sel:WORD_1 src1_sel:DWORD
	v_fma_f16 v109, v106, s26, v108
	v_add_f16_e32 v77, v109, v77
	v_mul_f16_sdwa v109, v106, s26 dst_sel:DWORD dst_unused:UNUSED_PAD src0_sel:WORD_1 src1_sel:DWORD
	v_fma_f16 v108, v106, s26, -v108
	v_add_f16_e32 v80, v108, v80
	v_fma_f16 v108, v70, s27, v109
	v_add_f16_e32 v78, v108, v78
	v_mul_f16_sdwa v108, v70, s16 dst_sel:DWORD dst_unused:UNUSED_PAD src0_sel:WORD_1 src1_sel:DWORD
	v_fma_f16 v110, v70, s25, v109
	v_fma_f16 v109, v106, s15, v108
	v_add_f16_e32 v81, v109, v81
	v_mul_f16_sdwa v109, v106, s15 dst_sel:DWORD dst_unused:UNUSED_PAD src0_sel:WORD_1 src1_sel:DWORD
	v_fma_f16 v108, v106, s15, -v108
	v_add_f16_e32 v84, v108, v84
	v_fma_f16 v108, v70, s16, v109
	v_add_f16_e32 v82, v108, v82
	v_mul_f16_sdwa v108, v70, s7 dst_sel:DWORD dst_unused:UNUSED_PAD src0_sel:WORD_1 src1_sel:DWORD
	v_add_f16_e32 v79, v110, v79
	v_fma_f16 v110, v70, s14, v109
	v_fma_f16 v109, v106, s12, v108
	v_add_f16_e32 v85, v109, v85
	v_mul_f16_sdwa v109, v106, s12 dst_sel:DWORD dst_unused:UNUSED_PAD src0_sel:WORD_1 src1_sel:DWORD
	v_fma_f16 v108, v106, s12, -v108
	v_add_f16_e32 v88, v108, v88
	v_fma_f16 v108, v70, s7, v109
	v_add_f16_e32 v86, v108, v86
	v_mul_f16_sdwa v108, v70, s28 dst_sel:DWORD dst_unused:UNUSED_PAD src0_sel:WORD_1 src1_sel:DWORD
	v_add_f16_e32 v83, v110, v83
	;; [unrolled: 10-line block ×4, first 2 shown]
	v_fma_f16 v110, v70, s4, v109
	v_fma_f16 v109, v106, s20, v108
	v_add_f16_e32 v97, v109, v97
	v_mul_f16_sdwa v109, v106, s20 dst_sel:DWORD dst_unused:UNUSED_PAD src0_sel:WORD_1 src1_sel:DWORD
	v_fma_f16 v108, v106, s20, -v108
	v_add_f16_e32 v100, v108, v100
	v_fma_f16 v108, v70, s19, v109
	v_add_f16_e32 v98, v108, v98
	v_pk_add_f16 v108, v69, v64
	v_pk_add_f16 v64, v64, v69 neg_lo:[0,1] neg_hi:[0,1]
	v_pk_mul_f16 v69, v64, s22 op_sel_hi:[1,0]
	v_add_f16_e32 v95, v110, v95
	v_fma_f16 v110, v70, s31, v109
	v_pk_fma_f16 v109, v108, s23, v69 op_sel:[0,0,1] op_sel_hi:[1,0,0]
	v_pk_fma_f16 v69, v108, s23, v69 op_sel:[0,0,1] op_sel_hi:[1,0,0] neg_lo:[0,0,1] neg_hi:[0,0,1]
	v_add_f16_e32 v99, v110, v99
	v_bfi_b32 v110, s33, v109, v69
	v_pk_add_f16 v76, v110, v76
	v_mul_f16_sdwa v110, v64, s21 dst_sel:DWORD dst_unused:UNUSED_PAD src0_sel:WORD_1 src1_sel:DWORD
	v_fma_f16 v111, v108, s18, v110
	v_add_f16_e32 v77, v111, v77
	v_mul_f16_sdwa v111, v108, s18 dst_sel:DWORD dst_unused:UNUSED_PAD src0_sel:WORD_1 src1_sel:DWORD
	v_fma_f16 v110, v108, s18, -v110
	v_add_f16_e32 v80, v110, v80
	v_fma_f16 v110, v64, s21, v111
	v_add_f16_e32 v78, v110, v78
	v_mul_f16_sdwa v110, v64, s19 dst_sel:DWORD dst_unused:UNUSED_PAD src0_sel:WORD_1 src1_sel:DWORD
	v_fma_f16 v112, v64, s17, v111
	v_fma_f16 v111, v108, s20, v110
	v_add_f16_e32 v81, v111, v81
	v_mul_f16_sdwa v111, v108, s20 dst_sel:DWORD dst_unused:UNUSED_PAD src0_sel:WORD_1 src1_sel:DWORD
	v_fma_f16 v110, v108, s20, -v110
	v_add_f16_e32 v84, v110, v84
	v_fma_f16 v110, v64, s19, v111
	v_add_f16_e32 v82, v110, v82
	v_mul_f16_sdwa v110, v64, s25 dst_sel:DWORD dst_unused:UNUSED_PAD src0_sel:WORD_1 src1_sel:DWORD
	v_add_f16_e32 v79, v112, v79
	v_fma_f16 v112, v64, s31, v111
	v_fma_f16 v111, v108, s26, v110
	v_add_f16_e32 v85, v111, v85
	v_mul_f16_sdwa v111, v108, s26 dst_sel:DWORD dst_unused:UNUSED_PAD src0_sel:WORD_1 src1_sel:DWORD
	v_fma_f16 v110, v108, s26, -v110
	v_add_f16_e32 v88, v110, v88
	v_fma_f16 v110, v64, s25, v111
	v_add_f16_e32 v86, v110, v86
	v_mul_f16_sdwa v110, v64, s6 dst_sel:DWORD dst_unused:UNUSED_PAD src0_sel:WORD_1 src1_sel:DWORD
	v_add_f16_e32 v83, v112, v83
	;; [unrolled: 10-line block ×4, first 2 shown]
	v_fma_f16 v112, v64, s16, v111
	v_fma_f16 v111, v108, s29, v110
	v_add_f16_e32 v97, v111, v97
	v_mul_f16_sdwa v111, v108, s29 dst_sel:DWORD dst_unused:UNUSED_PAD src0_sel:WORD_1 src1_sel:DWORD
	v_fma_f16 v110, v108, s29, -v110
	v_add_f16_e32 v100, v110, v100
	v_fma_f16 v110, v64, s28, v111
	v_add_f16_e32 v98, v110, v98
	v_pk_add_f16 v110, v68, v65
	v_pk_add_f16 v65, v65, v68 neg_lo:[0,1] neg_hi:[0,1]
	v_pk_mul_f16 v68, v65, s25 op_sel_hi:[1,0]
	v_add_f16_e32 v95, v112, v95
	v_fma_f16 v112, v64, s30, v111
	v_pk_fma_f16 v111, v110, s26, v68 op_sel:[0,0,1] op_sel_hi:[1,0,0]
	v_pk_fma_f16 v68, v110, s26, v68 op_sel:[0,0,1] op_sel_hi:[1,0,0] neg_lo:[0,0,1] neg_hi:[0,0,1]
	v_add_f16_e32 v99, v112, v99
	v_bfi_b32 v112, s33, v111, v68
	v_pk_add_f16 v76, v112, v76
	v_mul_f16_sdwa v112, v65, s13 dst_sel:DWORD dst_unused:UNUSED_PAD src0_sel:WORD_1 src1_sel:DWORD
	v_fma_f16 v113, v110, s12, v112
	v_add_f16_e32 v77, v113, v77
	v_mul_f16_sdwa v113, v110, s12 dst_sel:DWORD dst_unused:UNUSED_PAD src0_sel:WORD_1 src1_sel:DWORD
	v_fma_f16 v112, v110, s12, -v112
	v_add_f16_e32 v80, v112, v80
	v_fma_f16 v112, v65, s13, v113
	v_add_f16_e32 v78, v112, v78
	v_mul_f16_sdwa v112, v65, s4 dst_sel:DWORD dst_unused:UNUSED_PAD src0_sel:WORD_1 src1_sel:DWORD
	v_fma_f16 v114, v65, s7, v113
	v_fma_f16 v113, v110, s5, v112
	v_add_f16_e32 v81, v113, v81
	v_mul_f16_sdwa v113, v110, s5 dst_sel:DWORD dst_unused:UNUSED_PAD src0_sel:WORD_1 src1_sel:DWORD
	v_fma_f16 v112, v110, s5, -v112
	v_add_f16_e32 v84, v112, v84
	v_fma_f16 v112, v65, s4, v113
	v_add_f16_e32 v82, v112, v82
	v_mul_f16_sdwa v112, v65, s24 dst_sel:DWORD dst_unused:UNUSED_PAD src0_sel:WORD_1 src1_sel:DWORD
	v_add_f16_e32 v79, v114, v79
	v_fma_f16 v114, v65, s6, v113
	v_fma_f16 v113, v110, s23, v112
	v_add_f16_e32 v85, v113, v85
	v_mul_f16_sdwa v113, v110, s23 dst_sel:DWORD dst_unused:UNUSED_PAD src0_sel:WORD_1 src1_sel:DWORD
	v_fma_f16 v112, v110, s23, -v112
	v_add_f16_e32 v88, v112, v88
	v_fma_f16 v112, v65, s24, v113
	v_add_f16_e32 v86, v112, v86
	v_mul_f16_sdwa v112, v65, s19 dst_sel:DWORD dst_unused:UNUSED_PAD src0_sel:WORD_1 src1_sel:DWORD
	v_add_f16_e32 v83, v114, v83
	;; [unrolled: 10-line block ×4, first 2 shown]
	v_fma_f16 v114, v65, s30, v113
	v_fma_f16 v113, v110, s15, v112
	v_add_f16_e32 v97, v113, v97
	v_mul_f16_sdwa v113, v110, s15 dst_sel:DWORD dst_unused:UNUSED_PAD src0_sel:WORD_1 src1_sel:DWORD
	v_fma_f16 v112, v110, s15, -v112
	v_add_f16_e32 v100, v112, v100
	v_fma_f16 v112, v65, s16, v113
	v_add_f16_e32 v98, v112, v98
	v_pk_add_f16 v112, v32, v31
	v_pk_add_f16 v31, v31, v32 neg_lo:[0,1] neg_hi:[0,1]
	v_pk_mul_f16 v32, v31, s28 op_sel_hi:[1,0]
	v_add_f16_e32 v95, v114, v95
	v_fma_f16 v114, v65, s14, v113
	v_pk_fma_f16 v113, v112, s29, v32 op_sel:[0,0,1] op_sel_hi:[1,0,0]
	v_pk_fma_f16 v32, v112, s29, v32 op_sel:[0,0,1] op_sel_hi:[1,0,0] neg_lo:[0,0,1] neg_hi:[0,0,1]
	v_add_f16_e32 v99, v114, v99
	v_bfi_b32 v114, s33, v113, v32
	v_pk_add_f16 v76, v114, v76
	v_mul_f16_sdwa v114, v31, s31 dst_sel:DWORD dst_unused:UNUSED_PAD src0_sel:WORD_1 src1_sel:DWORD
	v_fma_f16 v115, v112, s20, v114
	v_add_f16_e32 v77, v115, v77
	v_mul_f16_sdwa v115, v112, s20 dst_sel:DWORD dst_unused:UNUSED_PAD src0_sel:WORD_1 src1_sel:DWORD
	v_fma_f16 v114, v112, s20, -v114
	v_add_f16_e32 v80, v114, v80
	v_fma_f16 v114, v31, s31, v115
	v_add_f16_e32 v78, v114, v78
	v_mul_f16_sdwa v114, v31, s25 dst_sel:DWORD dst_unused:UNUSED_PAD src0_sel:WORD_1 src1_sel:DWORD
	v_fma_f16 v116, v31, s19, v115
	v_fma_f16 v115, v112, s26, v114
	v_add_f16_e32 v81, v115, v81
	v_mul_f16_sdwa v115, v112, s26 dst_sel:DWORD dst_unused:UNUSED_PAD src0_sel:WORD_1 src1_sel:DWORD
	v_fma_f16 v114, v112, s26, -v114
	v_add_f16_e32 v84, v114, v84
	v_fma_f16 v114, v31, s25, v115
	v_add_f16_e32 v82, v114, v82
	v_mul_f16_sdwa v114, v31, s16 dst_sel:DWORD dst_unused:UNUSED_PAD src0_sel:WORD_1 src1_sel:DWORD
	v_add_f16_e32 v79, v116, v79
	v_fma_f16 v116, v31, s27, v115
	v_fma_f16 v115, v112, s15, v114
	v_add_f16_e32 v85, v115, v85
	v_mul_f16_sdwa v115, v112, s15 dst_sel:DWORD dst_unused:UNUSED_PAD src0_sel:WORD_1 src1_sel:DWORD
	v_fma_f16 v114, v112, s15, -v114
	v_add_f16_e32 v88, v114, v88
	v_fma_f16 v114, v31, s16, v115
	v_add_f16_e32 v86, v114, v86
	v_mul_f16_sdwa v114, v31, s22 dst_sel:DWORD dst_unused:UNUSED_PAD src0_sel:WORD_1 src1_sel:DWORD
	v_add_f16_e32 v83, v116, v83
	;; [unrolled: 10-line block ×4, first 2 shown]
	v_fma_f16 v116, v31, s7, v115
	v_fma_f16 v115, v112, s18, v114
	v_add_f16_e32 v97, v115, v97
	v_mul_f16_sdwa v115, v112, s18 dst_sel:DWORD dst_unused:UNUSED_PAD src0_sel:WORD_1 src1_sel:DWORD
	v_add_f16_e32 v95, v116, v95
	v_fma_f16 v116, v31, s21, v115
	s_waitcnt lgkmcnt(0)
	; wave barrier
	ds_write2_b32 v66, v41, v76 offset1:1
	v_pack_b32_f16 v41, v81, v83
	v_pack_b32_f16 v76, v77, v79
	v_add_f16_e32 v99, v116, v99
	ds_write2_b32 v66, v76, v41 offset0:2 offset1:3
	v_pack_b32_f16 v41, v89, v91
	v_pack_b32_f16 v76, v85, v87
	ds_write2_b32 v66, v76, v41 offset0:4 offset1:5
	v_pack_b32_f16 v41, v97, v99
	v_pack_b32_f16 v76, v93, v95
	v_pk_mul_f16 v40, v40, s29 op_sel_hi:[1,0]
	ds_write2_b32 v66, v76, v41 offset0:6 offset1:7
	v_pk_fma_f16 v41, v39, s28, v40 op_sel:[0,0,1] op_sel_hi:[1,0,0]
	v_pk_fma_f16 v39, v39, s28, v40 op_sel:[0,0,1] op_sel_hi:[1,0,0] neg_lo:[1,0,0] neg_hi:[1,0,0]
	v_alignbit_b32 v40, s0, v29, 16
	v_alignbit_b32 v76, s0, v41, 16
	v_pk_add_f16 v40, v40, v41
	v_pk_mul_f16 v41, v101, s20 op_sel_hi:[1,0]
	v_pk_add_f16 v39, v29, v39 op_sel:[1,0] op_sel_hi:[0,1]
	v_pk_fma_f16 v77, v73, s31, v41 op_sel:[0,0,1] op_sel_hi:[1,0,0]
	v_pk_fma_f16 v41, v73, s31, v41 op_sel:[0,0,1] op_sel_hi:[1,0,0] neg_lo:[1,0,0] neg_hi:[1,0,0]
	v_pk_add_f16 v39, v41, v39
	v_pk_mul_f16 v41, v102, s26 op_sel_hi:[1,0]
	v_pk_fma_f16 v73, v44, s25, v41 op_sel:[0,0,1] op_sel_hi:[1,0,0]
	v_pk_fma_f16 v41, v44, s25, v41 op_sel:[0,0,1] op_sel_hi:[1,0,0] neg_lo:[1,0,0] neg_hi:[1,0,0]
	v_pk_add_f16 v39, v41, v39
	v_pk_mul_f16 v41, v104, s15 op_sel_hi:[1,0]
	v_pk_add_f16 v40, v77, v40
	v_pk_fma_f16 v44, v71, s16, v41 op_sel:[0,0,1] op_sel_hi:[1,0,0]
	v_pk_fma_f16 v41, v71, s16, v41 op_sel:[0,0,1] op_sel_hi:[1,0,0] neg_lo:[1,0,0] neg_hi:[1,0,0]
	v_pk_add_f16 v40, v73, v40
	v_pk_add_f16 v39, v41, v39
	v_pk_mul_f16 v41, v106, s23 op_sel_hi:[1,0]
	v_alignbit_b32 v79, s0, v77, 16
	v_alignbit_b32 v77, s0, v73, 16
	;; [unrolled: 1-line block ×3, first 2 shown]
	v_pk_add_f16 v40, v44, v40
	v_pk_fma_f16 v44, v70, s22, v41 op_sel:[0,0,1] op_sel_hi:[1,0,0]
	v_pk_fma_f16 v41, v70, s22, v41 op_sel:[0,0,1] op_sel_hi:[1,0,0] neg_lo:[1,0,0] neg_hi:[1,0,0]
	v_pk_add_f16 v76, v29, v76
	v_pk_add_f16 v39, v41, v39
	v_pk_mul_f16 v41, v108, s12 op_sel_hi:[1,0]
	v_pk_add_f16 v76, v79, v76
	v_alignbit_b32 v71, s0, v44, 16
	v_pk_add_f16 v40, v44, v40
	v_pk_fma_f16 v44, v64, s13, v41 op_sel:[0,0,1] op_sel_hi:[1,0,0]
	v_pk_fma_f16 v41, v64, s13, v41 op_sel:[0,0,1] op_sel_hi:[1,0,0] neg_lo:[1,0,0] neg_hi:[1,0,0]
	v_pk_add_f16 v76, v77, v76
	v_pk_add_f16 v39, v41, v39
	v_pk_mul_f16 v41, v110, s18 op_sel_hi:[1,0]
	v_pk_add_f16 v73, v73, v76
	v_alignbit_b32 v70, s0, v44, 16
	v_pk_add_f16 v40, v44, v40
	v_pk_fma_f16 v44, v65, s17, v41 op_sel:[0,0,1] op_sel_hi:[1,0,0]
	v_pk_fma_f16 v41, v65, s17, v41 op_sel:[0,0,1] op_sel_hi:[1,0,0] neg_lo:[1,0,0] neg_hi:[1,0,0]
	v_bfi_b32 v30, s33, v38, v30
	v_pk_add_f16 v71, v71, v73
	v_pk_add_f16 v39, v41, v39
	v_pk_mul_f16 v41, v112, s5 op_sel_hi:[1,0]
	v_pk_add_f16 v29, v29, v30
	v_bfi_b32 v30, s33, v43, v42
	v_fma_f16 v114, v112, s18, -v114
	v_pk_add_f16 v70, v70, v71
	v_alignbit_b32 v64, s0, v44, 16
	v_pk_add_f16 v40, v44, v40
	v_pk_fma_f16 v44, v31, s6, v41 op_sel:[0,0,1] op_sel_hi:[1,0,0]
	v_pk_add_f16 v29, v30, v29
	v_bfi_b32 v30, s33, v72, v103
	v_add_f16_e32 v100, v114, v100
	v_fma_f16 v114, v31, s17, v115
	v_pk_add_f16 v64, v64, v70
	v_alignbit_b32 v65, s0, v44, 16
	v_pk_fma_f16 v31, v31, s6, v41 op_sel:[0,0,1] op_sel_hi:[1,0,0] neg_lo:[1,0,0] neg_hi:[1,0,0]
	v_pk_add_f16 v29, v30, v29
	v_bfi_b32 v30, s33, v74, v105
	v_pk_add_f16 v64, v65, v64
	v_pk_add_f16 v31, v31, v39
	v_pk_add_f16 v39, v44, v40
	v_pk_add_f16 v29, v30, v29
	v_bfi_b32 v30, s33, v75, v107
	v_add_f16_e32 v98, v114, v98
	v_alignbit_b32 v39, v39, v31, 16
	v_pack_b32_f16 v31, v64, v31
	v_pk_add_f16 v29, v30, v29
	v_bfi_b32 v30, s33, v69, v109
	ds_write2_b32 v66, v31, v39 offset0:8 offset1:9
	v_pack_b32_f16 v31, v96, v94
	v_pack_b32_f16 v39, v100, v98
	v_pk_add_f16 v29, v30, v29
	v_bfi_b32 v30, s33, v68, v111
	ds_write2_b32 v66, v39, v31 offset0:10 offset1:11
	v_pack_b32_f16 v31, v88, v86
	;; [unrolled: 5-line block ×3, first 2 shown]
	v_pack_b32_f16 v39, v84, v82
	v_pk_add_f16 v29, v30, v29
	ds_write2_b32 v66, v39, v31 offset0:14 offset1:15
	ds_write_b32 v66, v29 offset:64
	s_waitcnt lgkmcnt(0)
	; wave barrier
	s_waitcnt lgkmcnt(0)
	ds_read2_b32 v[30:31], v45 offset1:51
	ds_read2_b32 v[38:39], v45 offset0:102 offset1:153
	ds_read2_b32 v[40:41], v45 offset0:204 offset1:255
	;; [unrolled: 1-line block ×4, first 2 shown]
	s_waitcnt lgkmcnt(4)
	v_lshrrev_b32_e32 v29, 16, v31
	v_mul_f16_sdwa v86, v0, v29 dst_sel:DWORD dst_unused:UNUSED_PAD src0_sel:WORD_1 src1_sel:DWORD
	s_waitcnt lgkmcnt(3)
	v_lshrrev_b32_e32 v32, 16, v38
	v_fma_f16 v86, v0, v31, v86
	v_mul_f16_sdwa v31, v0, v31 dst_sel:DWORD dst_unused:UNUSED_PAD src0_sel:WORD_1 src1_sel:DWORD
	v_fma_f16 v31, v0, v29, -v31
	v_mul_f16_sdwa v0, v1, v32 dst_sel:DWORD dst_unused:UNUSED_PAD src0_sel:WORD_1 src1_sel:DWORD
	v_lshrrev_b32_e32 v44, 16, v39
	v_fma_f16 v87, v1, v38, v0
	v_mul_f16_sdwa v0, v1, v38 dst_sel:DWORD dst_unused:UNUSED_PAD src0_sel:WORD_1 src1_sel:DWORD
	v_fma_f16 v32, v1, v32, -v0
	v_mul_f16_sdwa v0, v2, v44 dst_sel:DWORD dst_unused:UNUSED_PAD src0_sel:WORD_1 src1_sel:DWORD
	s_waitcnt lgkmcnt(2)
	v_lshrrev_b32_e32 v66, 16, v40
	v_fma_f16 v38, v2, v39, v0
	v_mul_f16_sdwa v0, v2, v39 dst_sel:DWORD dst_unused:UNUSED_PAD src0_sel:WORD_1 src1_sel:DWORD
	v_fma_f16 v39, v2, v44, -v0
	v_mul_f16_sdwa v0, v3, v66 dst_sel:DWORD dst_unused:UNUSED_PAD src0_sel:WORD_1 src1_sel:DWORD
	v_lshrrev_b32_e32 v74, 16, v41
	v_fma_f16 v44, v3, v40, v0
	v_mul_f16_sdwa v0, v3, v40 dst_sel:DWORD dst_unused:UNUSED_PAD src0_sel:WORD_1 src1_sel:DWORD
	v_fma_f16 v40, v3, v66, -v0
	v_mul_f16_sdwa v0, v8, v74 dst_sel:DWORD dst_unused:UNUSED_PAD src0_sel:WORD_1 src1_sel:DWORD
	s_waitcnt lgkmcnt(1)
	v_lshrrev_b32_e32 v75, 16, v42
	v_fma_f16 v66, v8, v41, v0
	v_mul_f16_sdwa v0, v8, v41 dst_sel:DWORD dst_unused:UNUSED_PAD src0_sel:WORD_1 src1_sel:DWORD
	v_fma_f16 v41, v8, v74, -v0
	v_mul_f16_sdwa v0, v9, v75 dst_sel:DWORD dst_unused:UNUSED_PAD src0_sel:WORD_1 src1_sel:DWORD
	ds_read2_b32 v[68:69], v37 offset0:126 offset1:177
	v_lshrrev_b32_e32 v37, 16, v43
	v_fma_f16 v74, v9, v42, v0
	v_mul_f16_sdwa v0, v9, v42 dst_sel:DWORD dst_unused:UNUSED_PAD src0_sel:WORD_1 src1_sel:DWORD
	v_fma_f16 v42, v9, v75, -v0
	v_mul_f16_sdwa v0, v10, v37 dst_sel:DWORD dst_unused:UNUSED_PAD src0_sel:WORD_1 src1_sel:DWORD
	s_waitcnt lgkmcnt(1)
	v_lshrrev_b32_e32 v76, 16, v64
	v_fma_f16 v29, v10, v43, v0
	v_mul_f16_sdwa v0, v10, v43 dst_sel:DWORD dst_unused:UNUSED_PAD src0_sel:WORD_1 src1_sel:DWORD
	v_fma_f16 v10, v10, v37, -v0
	v_mul_f16_sdwa v0, v11, v76 dst_sel:DWORD dst_unused:UNUSED_PAD src0_sel:WORD_1 src1_sel:DWORD
	v_lshrrev_b32_e32 v77, 16, v65
	v_fma_f16 v2, v11, v64, v0
	v_mul_f16_sdwa v0, v11, v64 dst_sel:DWORD dst_unused:UNUSED_PAD src0_sel:WORD_1 src1_sel:DWORD
	ds_read2_b32 v[70:71], v36 offset0:100 offset1:151
	v_fma_f16 v3, v11, v76, -v0
	v_mul_f16_sdwa v0, v12, v77 dst_sel:DWORD dst_unused:UNUSED_PAD src0_sel:WORD_1 src1_sel:DWORD
	s_waitcnt lgkmcnt(1)
	v_lshrrev_b32_e32 v78, 16, v68
	v_fma_f16 v8, v12, v65, v0
	v_mul_f16_sdwa v0, v12, v65 dst_sel:DWORD dst_unused:UNUSED_PAD src0_sel:WORD_1 src1_sel:DWORD
	v_fma_f16 v9, v12, v77, -v0
	v_mul_f16_sdwa v0, v13, v78 dst_sel:DWORD dst_unused:UNUSED_PAD src0_sel:WORD_1 src1_sel:DWORD
	v_lshrrev_b32_e32 v79, 16, v69
	v_fma_f16 v11, v13, v68, v0
	v_mul_f16_sdwa v0, v13, v68 dst_sel:DWORD dst_unused:UNUSED_PAD src0_sel:WORD_1 src1_sel:DWORD
	ds_read2_b32 v[72:73], v36 offset0:202 offset1:253
	v_fma_f16 v12, v13, v78, -v0
	v_mul_f16_sdwa v0, v14, v79 dst_sel:DWORD dst_unused:UNUSED_PAD src0_sel:WORD_1 src1_sel:DWORD
	s_waitcnt lgkmcnt(1)
	v_lshrrev_b32_e32 v81, 16, v70
	v_fma_f16 v13, v14, v69, v0
	v_mul_f16_sdwa v0, v14, v69 dst_sel:DWORD dst_unused:UNUSED_PAD src0_sel:WORD_1 src1_sel:DWORD
	v_fma_f16 v14, v14, v79, -v0
	v_mul_f16_sdwa v0, v15, v81 dst_sel:DWORD dst_unused:UNUSED_PAD src0_sel:WORD_1 src1_sel:DWORD
	v_lshrrev_b32_e32 v82, 16, v71
	v_fma_f16 v37, v15, v70, v0
	v_mul_f16_sdwa v0, v15, v70 dst_sel:DWORD dst_unused:UNUSED_PAD src0_sel:WORD_1 src1_sel:DWORD
	ds_read_b32 v80, v45 offset:3264
	v_fma_f16 v15, v15, v81, -v0
	v_mul_f16_sdwa v0, v4, v82 dst_sel:DWORD dst_unused:UNUSED_PAD src0_sel:WORD_1 src1_sel:DWORD
	s_waitcnt lgkmcnt(1)
	v_lshrrev_b32_e32 v83, 16, v72
	v_fma_f16 v43, v4, v71, v0
	v_mul_f16_sdwa v0, v4, v71 dst_sel:DWORD dst_unused:UNUSED_PAD src0_sel:WORD_1 src1_sel:DWORD
	v_fma_f16 v4, v4, v82, -v0
	v_mul_f16_sdwa v0, v5, v83 dst_sel:DWORD dst_unused:UNUSED_PAD src0_sel:WORD_1 src1_sel:DWORD
	v_lshrrev_b32_e32 v84, 16, v73
	v_fma_f16 v64, v5, v72, v0
	v_mul_f16_sdwa v0, v5, v72 dst_sel:DWORD dst_unused:UNUSED_PAD src0_sel:WORD_1 src1_sel:DWORD
	v_fma_f16 v5, v5, v83, -v0
	v_mul_f16_sdwa v0, v6, v84 dst_sel:DWORD dst_unused:UNUSED_PAD src0_sel:WORD_1 src1_sel:DWORD
	s_waitcnt lgkmcnt(0)
	v_lshrrev_b32_e32 v85, 16, v80
	v_fma_f16 v65, v6, v73, v0
	v_mul_f16_sdwa v0, v6, v73 dst_sel:DWORD dst_unused:UNUSED_PAD src0_sel:WORD_1 src1_sel:DWORD
	v_fma_f16 v6, v6, v84, -v0
	v_mul_f16_sdwa v0, v7, v85 dst_sel:DWORD dst_unused:UNUSED_PAD src0_sel:WORD_1 src1_sel:DWORD
	v_fma_f16 v68, v7, v80, v0
	v_mul_f16_sdwa v0, v7, v80 dst_sel:DWORD dst_unused:UNUSED_PAD src0_sel:WORD_1 src1_sel:DWORD
	v_add_f16_sdwa v1, v30, v31 dst_sel:DWORD dst_unused:UNUSED_PAD src0_sel:WORD_1 src1_sel:DWORD
	v_fma_f16 v7, v7, v85, -v0
	v_add_f16_e32 v0, v30, v86
	v_add_f16_e32 v1, v1, v32
	;; [unrolled: 1-line block ×31, first 2 shown]
	v_sub_f16_e32 v7, v31, v7
	v_add_f16_e32 v0, v0, v68
	v_add_f16_e32 v69, v86, v68
	v_sub_f16_e32 v68, v86, v68
	v_mul_f16_e32 v31, 0xb5c8, v7
	v_mul_f16_e32 v72, 0x3b76, v70
	;; [unrolled: 1-line block ×16, first 2 shown]
	v_fma_f16 v71, v69, s20, v31
	v_fma_f16 v73, v68, s31, v72
	v_fma_f16 v31, v69, s20, -v31
	v_fma_f16 v72, v68, s19, v72
	v_fma_f16 v76, v69, s15, v75
	v_fma_f16 v78, v68, s16, v77
	v_fma_f16 v75, v69, s15, -v75
	v_fma_f16 v77, v68, s14, v77
	;; [unrolled: 4-line block ×8, first 2 shown]
	v_add_f16_e32 v69, v32, v6
	v_sub_f16_e32 v6, v32, v6
	v_add_f16_e32 v71, v30, v71
	v_add_f16_sdwa v73, v30, v73 dst_sel:DWORD dst_unused:UNUSED_PAD src0_sel:WORD_1 src1_sel:DWORD
	v_add_f16_e32 v31, v30, v31
	v_add_f16_sdwa v72, v30, v72 dst_sel:DWORD dst_unused:UNUSED_PAD src0_sel:WORD_1 src1_sel:DWORD
	;; [unrolled: 2-line block ×16, first 2 shown]
	v_add_f16_e32 v68, v87, v65
	v_mul_f16_e32 v32, 0xb964, v6
	v_fma_f16 v70, v68, s15, v32
	v_sub_f16_e32 v65, v87, v65
	v_add_f16_e32 v70, v70, v71
	v_mul_f16_e32 v71, 0x39e9, v69
	v_fma_f16 v32, v68, s15, -v32
	v_fma_f16 v87, v65, s16, v71
	v_add_f16_e32 v31, v32, v31
	v_fma_f16 v32, v65, s14, v71
	v_mul_f16_e32 v71, 0xbbf7, v6
	v_add_f16_e32 v32, v32, v72
	v_fma_f16 v72, v68, s5, v71
	v_add_f16_e32 v72, v72, v76
	v_mul_f16_e32 v76, 0x2de8, v69
	v_fma_f16 v71, v68, s5, -v71
	v_add_f16_e32 v73, v87, v73
	v_fma_f16 v87, v65, s6, v76
	v_add_f16_e32 v71, v71, v75
	v_fma_f16 v75, v65, s4, v76
	v_mul_f16_e32 v76, 0xba62, v6
	v_add_f16_e32 v75, v75, v77
	v_fma_f16 v77, v68, s23, v76
	v_add_f16_e32 v77, v77, v80
	v_mul_f16_e32 v80, 0xb8d2, v69
	v_fma_f16 v76, v68, s23, -v76
	v_add_f16_e32 v78, v87, v78
	;; [unrolled: 10-line block ×3, first 2 shown]
	v_fma_f16 v87, v65, s30, v84
	v_add_f16_e32 v80, v80, v83
	v_fma_f16 v83, v65, s28, v84
	v_mul_f16_e32 v84, 0x3836, v6
	v_add_f16_e32 v86, v87, v86
	v_add_f16_e32 v83, v83, v85
	v_fma_f16 v85, v68, s26, v84
	v_mul_f16_e32 v87, 0xbacd, v69
	v_fma_f16 v84, v68, s26, -v84
	v_add_f16_e32 v85, v85, v89
	v_fma_f16 v89, v65, s25, v87
	v_add_f16_e32 v84, v84, v88
	v_fma_f16 v87, v65, s27, v87
	v_mul_f16_e32 v88, 0x3bb2, v6
	v_add_f16_e32 v89, v89, v91
	v_add_f16_e32 v87, v87, v90
	v_fma_f16 v90, v68, s18, v88
	v_mul_f16_e32 v91, 0xb461, v69
	v_fma_f16 v88, v68, s18, -v88
	v_add_f16_e32 v90, v90, v93
	v_fma_f16 v93, v65, s17, v91
	v_add_f16_e32 v88, v88, v92
	v_fma_f16 v91, v65, s21, v91
	v_mul_f16_e32 v92, 0x3b29, v6
	v_add_f16_e32 v93, v93, v95
	v_add_f16_e32 v91, v91, v94
	v_fma_f16 v94, v68, s12, v92
	v_mul_f16_e32 v95, 0x3722, v69
	v_fma_f16 v92, v68, s12, -v92
	v_mul_f16_e32 v6, 0x35c8, v6
	v_add_f16_e32 v94, v94, v97
	v_fma_f16 v97, v65, s7, v95
	v_add_f16_e32 v92, v92, v96
	v_fma_f16 v95, v65, s13, v95
	v_fma_f16 v96, v68, s20, v6
	v_mul_f16_e32 v69, 0x3b76, v69
	v_fma_f16 v6, v68, s20, -v6
	v_add_f16_e32 v95, v95, v98
	v_fma_f16 v98, v65, s19, v69
	v_add_f16_e32 v6, v6, v7
	v_fma_f16 v7, v65, s31, v69
	v_add_f16_e32 v65, v39, v5
	v_sub_f16_e32 v5, v39, v5
	v_add_f16_e32 v7, v7, v30
	v_add_f16_e32 v30, v38, v64
	v_mul_f16_e32 v39, 0xbb29, v5
	v_sub_f16_e32 v38, v38, v64
	v_fma_f16 v64, v30, s12, v39
	v_mul_f16_e32 v68, 0x3722, v65
	v_fma_f16 v39, v30, s12, -v39
	v_add_f16_e32 v31, v39, v31
	v_fma_f16 v39, v38, s7, v68
	v_add_f16_e32 v32, v39, v32
	v_mul_f16_e32 v39, 0xba62, v5
	v_fma_f16 v69, v38, s13, v68
	v_fma_f16 v68, v30, s23, v39
	v_fma_f16 v39, v30, s23, -v39
	v_add_f16_e32 v64, v64, v70
	v_mul_f16_e32 v70, 0xb8d2, v65
	v_add_f16_e32 v39, v39, v71
	v_mul_f16_e32 v71, 0x31e1, v5
	v_add_f16_e32 v69, v69, v73
	v_add_f16_e32 v68, v68, v72
	v_fma_f16 v72, v38, s24, v70
	v_fma_f16 v70, v38, s22, v70
	v_fma_f16 v73, v30, s29, v71
	v_fma_f16 v71, v30, s29, -v71
	v_add_f16_e32 v70, v70, v75
	v_mul_f16_e32 v75, 0xbbdd, v65
	v_add_f16_e32 v71, v71, v76
	v_mul_f16_e32 v76, 0x3bb2, v5
	v_add_f16_e32 v72, v72, v78
	v_add_f16_e32 v73, v73, v77
	v_fma_f16 v77, v38, s28, v75
	v_fma_f16 v75, v38, s30, v75
	v_fma_f16 v78, v30, s18, v76
	v_fma_f16 v76, v30, s18, -v76
	v_add_f16_e32 v75, v75, v79
	v_mul_f16_e32 v79, 0xb461, v65
	v_add_f16_e32 v76, v76, v80
	v_mul_f16_e32 v80, 0x3964, v5
	v_add_f16_e32 v77, v77, v82
	v_add_f16_e32 v78, v78, v81
	v_fma_f16 v81, v38, s17, v79
	v_fma_f16 v79, v38, s21, v79
	v_fma_f16 v82, v30, s15, v80
	v_fma_f16 v80, v30, s15, -v80
	v_add_f16_e32 v79, v79, v83
	v_mul_f16_e32 v83, 0x39e9, v65
	v_add_f16_e32 v80, v80, v84
	v_mul_f16_e32 v84, 0xb5c8, v5
	v_add_f16_e32 v81, v81, v86
	v_add_f16_e32 v82, v82, v85
	v_fma_f16 v85, v38, s14, v83
	v_fma_f16 v83, v38, s16, v83
	v_fma_f16 v86, v30, s20, v84
	v_fma_f16 v84, v30, s20, -v84
	v_add_f16_e32 v83, v83, v87
	v_mul_f16_e32 v87, 0x3b76, v65
	v_add_f16_e32 v84, v84, v88
	v_mul_f16_e32 v88, 0xbbf7, v5
	v_add_f16_e32 v85, v85, v89
	v_add_f16_e32 v86, v86, v90
	v_fma_f16 v89, v38, s31, v87
	v_fma_f16 v87, v38, s19, v87
	v_fma_f16 v90, v30, s5, v88
	v_fma_f16 v88, v30, s5, -v88
	v_mul_f16_e32 v5, 0xb836, v5
	v_add_f16_e32 v87, v87, v91
	v_mul_f16_e32 v91, 0x2de8, v65
	v_add_f16_e32 v88, v88, v92
	v_fma_f16 v92, v30, s26, v5
	v_mul_f16_e32 v65, 0xbacd, v65
	v_fma_f16 v5, v30, s26, -v5
	v_add_f16_e32 v5, v5, v6
	v_fma_f16 v6, v38, s25, v65
	v_add_f16_e32 v30, v40, v4
	v_sub_f16_e32 v4, v40, v4
	v_add_f16_e32 v6, v6, v7
	v_add_f16_e32 v7, v44, v43
	v_mul_f16_e32 v40, 0xbbf7, v4
	v_add_f16_e32 v89, v89, v93
	v_add_f16_e32 v90, v90, v94
	v_fma_f16 v93, v38, s6, v91
	v_fma_f16 v91, v38, s4, v91
	;; [unrolled: 1-line block ×3, first 2 shown]
	v_sub_f16_e32 v38, v44, v43
	v_fma_f16 v43, v7, s5, v40
	v_mul_f16_e32 v44, 0x2de8, v30
	v_fma_f16 v40, v7, s5, -v40
	v_add_f16_e32 v31, v40, v31
	v_fma_f16 v40, v38, s4, v44
	v_add_f16_e32 v32, v40, v32
	v_mul_f16_e32 v40, 0xb1e1, v4
	v_add_f16_e32 v43, v43, v64
	v_fma_f16 v64, v38, s6, v44
	v_fma_f16 v44, v7, s29, v40
	v_mul_f16_e32 v65, 0xbbdd, v30
	v_fma_f16 v40, v7, s29, -v40
	v_add_f16_e32 v44, v44, v68
	v_fma_f16 v68, v38, s30, v65
	v_add_f16_e32 v39, v40, v39
	v_fma_f16 v40, v38, s28, v65
	v_mul_f16_e32 v65, 0x3bb2, v4
	v_add_f16_e32 v64, v64, v69
	v_fma_f16 v69, v7, s18, v65
	v_fma_f16 v65, v7, s18, -v65
	v_add_f16_e32 v40, v40, v70
	v_mul_f16_e32 v70, 0xb461, v30
	v_add_f16_e32 v65, v65, v71
	v_mul_f16_e32 v71, 0x35c8, v4
	v_add_f16_e32 v68, v68, v72
	v_add_f16_e32 v69, v69, v73
	v_fma_f16 v72, v38, s17, v70
	v_fma_f16 v70, v38, s21, v70
	v_fma_f16 v73, v7, s20, v71
	v_fma_f16 v71, v7, s20, -v71
	v_add_f16_e32 v70, v70, v75
	v_mul_f16_e32 v75, 0x3b76, v30
	v_add_f16_e32 v71, v71, v76
	v_mul_f16_e32 v76, 0xbb29, v4
	v_add_f16_e32 v72, v72, v77
	v_add_f16_e32 v73, v73, v78
	v_fma_f16 v77, v38, s19, v75
	v_fma_f16 v75, v38, s31, v75
	v_fma_f16 v78, v7, s12, v76
	v_fma_f16 v76, v7, s12, -v76
	v_add_f16_e32 v75, v75, v79
	v_mul_f16_e32 v79, 0x3722, v30
	v_add_f16_e32 v76, v76, v80
	v_mul_f16_e32 v80, 0xb836, v4
	v_add_f16_e32 v77, v77, v81
	v_add_f16_e32 v78, v78, v82
	v_fma_f16 v81, v38, s13, v79
	v_fma_f16 v79, v38, s7, v79
	v_fma_f16 v82, v7, s26, v80
	v_fma_f16 v80, v7, s26, -v80
	v_add_f16_e32 v79, v79, v83
	v_mul_f16_e32 v83, 0xbacd, v30
	v_add_f16_e32 v80, v80, v84
	v_mul_f16_e32 v84, 0x3a62, v4
	v_add_f16_e32 v81, v81, v85
	v_add_f16_e32 v82, v82, v86
	v_fma_f16 v85, v38, s27, v83
	v_fma_f16 v83, v38, s25, v83
	v_fma_f16 v86, v7, s23, v84
	v_fma_f16 v84, v7, s23, -v84
	v_mul_f16_e32 v4, 0x3964, v4
	v_add_f16_e32 v83, v83, v87
	v_mul_f16_e32 v87, 0xb8d2, v30
	v_add_f16_e32 v84, v84, v88
	v_fma_f16 v88, v7, s15, v4
	v_mul_f16_e32 v30, 0x39e9, v30
	v_fma_f16 v4, v7, s15, -v4
	v_add_f16_e32 v4, v4, v5
	v_fma_f16 v5, v38, s16, v30
	v_add_f16_e32 v7, v41, v15
	v_sub_f16_e32 v15, v41, v15
	v_add_f16_e32 v86, v86, v90
	v_fma_f16 v90, v38, s14, v30
	v_add_f16_e32 v5, v5, v6
	v_add_f16_e32 v6, v66, v37
	v_sub_f16_e32 v30, v66, v37
	v_mul_f16_e32 v37, 0xbbb2, v15
	v_add_f16_e32 v85, v85, v89
	v_fma_f16 v89, v38, s22, v87
	v_fma_f16 v87, v38, s24, v87
	;; [unrolled: 1-line block ×3, first 2 shown]
	v_mul_f16_e32 v41, 0xb461, v7
	v_fma_f16 v37, v6, s18, -v37
	v_add_f16_e32 v31, v37, v31
	v_fma_f16 v37, v30, s17, v41
	v_add_f16_e32 v32, v37, v32
	v_mul_f16_e32 v37, 0x3836, v15
	v_add_f16_e32 v38, v38, v43
	v_fma_f16 v43, v30, s21, v41
	v_fma_f16 v41, v6, s26, v37
	v_add_f16_e32 v41, v41, v44
	v_mul_f16_e32 v44, 0xbacd, v7
	v_fma_f16 v37, v6, s26, -v37
	v_add_f16_e32 v37, v37, v39
	v_fma_f16 v39, v30, s27, v44
	v_add_f16_e32 v39, v39, v40
	v_mul_f16_e32 v40, 0x3964, v15
	v_add_f16_e32 v43, v43, v64
	v_fma_f16 v64, v30, s25, v44
	v_fma_f16 v44, v6, s15, v40
	v_mul_f16_e32 v66, 0x39e9, v7
	v_fma_f16 v40, v6, s15, -v40
	v_add_f16_e32 v64, v64, v68
	v_fma_f16 v68, v30, s14, v66
	v_add_f16_e32 v40, v40, v65
	v_fma_f16 v65, v30, s16, v66
	v_mul_f16_e32 v66, 0xbb29, v15
	v_add_f16_e32 v44, v44, v69
	v_fma_f16 v69, v6, s12, v66
	v_fma_f16 v66, v6, s12, -v66
	v_add_f16_e32 v65, v65, v70
	v_mul_f16_e32 v70, 0x3722, v7
	v_add_f16_e32 v66, v66, v71
	v_mul_f16_e32 v71, 0xb1e1, v15
	v_add_f16_e32 v68, v68, v72
	v_add_f16_e32 v69, v69, v73
	v_fma_f16 v72, v30, s13, v70
	v_fma_f16 v70, v30, s7, v70
	v_fma_f16 v73, v6, s29, v71
	v_fma_f16 v71, v6, s29, -v71
	v_add_f16_e32 v70, v70, v75
	v_mul_f16_e32 v75, 0xbbdd, v7
	v_add_f16_e32 v71, v71, v76
	v_mul_f16_e32 v76, 0x3bf7, v15
	v_add_f16_e32 v72, v72, v77
	v_add_f16_e32 v73, v73, v78
	v_fma_f16 v77, v30, s30, v75
	v_fma_f16 v75, v30, s28, v75
	;; [unrolled: 10-line block ×3, first 2 shown]
	v_fma_f16 v82, v6, s20, v80
	v_fma_f16 v80, v6, s20, -v80
	v_mul_f16_e32 v15, 0xba62, v15
	v_add_f16_e32 v79, v79, v83
	v_mul_f16_e32 v83, 0x3b76, v7
	v_add_f16_e32 v80, v80, v84
	v_fma_f16 v84, v6, s23, v15
	v_mul_f16_e32 v7, 0xb8d2, v7
	v_fma_f16 v6, v6, s23, -v15
	v_add_f16_e32 v82, v82, v86
	v_fma_f16 v86, v30, s24, v7
	v_add_f16_e32 v4, v6, v4
	v_fma_f16 v6, v30, s22, v7
	v_add_f16_e32 v7, v42, v14
	v_sub_f16_e32 v14, v42, v14
	v_add_f16_e32 v5, v6, v5
	v_add_f16_e32 v6, v74, v13
	v_mul_f16_e32 v15, 0xba62, v14
	v_add_f16_e32 v81, v81, v85
	v_fma_f16 v85, v30, s31, v83
	v_fma_f16 v83, v30, s19, v83
	;; [unrolled: 1-line block ×3, first 2 shown]
	v_sub_f16_e32 v13, v74, v13
	v_add_f16_e32 v30, v30, v38
	v_mul_f16_e32 v38, 0xb8d2, v7
	v_fma_f16 v15, v6, s23, -v15
	v_add_f16_e32 v15, v15, v31
	v_fma_f16 v31, v13, s22, v38
	v_add_f16_e32 v31, v31, v32
	v_mul_f16_e32 v32, 0x3bb2, v14
	v_fma_f16 v42, v13, s24, v38
	v_fma_f16 v38, v6, s18, v32
	v_add_f16_e32 v38, v38, v41
	v_mul_f16_e32 v41, 0xb461, v7
	v_fma_f16 v32, v6, s18, -v32
	v_add_f16_e32 v32, v32, v37
	v_fma_f16 v37, v13, s21, v41
	v_add_f16_e32 v37, v37, v39
	v_mul_f16_e32 v39, 0xb5c8, v14
	v_add_f16_e32 v42, v42, v43
	v_fma_f16 v43, v13, s17, v41
	v_fma_f16 v41, v6, s20, v39
	v_add_f16_e32 v41, v41, v44
	v_mul_f16_e32 v44, 0x3b76, v7
	v_fma_f16 v39, v6, s20, -v39
	v_add_f16_e32 v43, v43, v64
	v_fma_f16 v64, v13, s31, v44
	v_add_f16_e32 v39, v39, v40
	v_fma_f16 v40, v13, s19, v44
	v_mul_f16_e32 v44, 0xb836, v14
	v_add_f16_e32 v64, v64, v68
	v_add_f16_e32 v40, v40, v65
	v_fma_f16 v65, v6, s26, v44
	v_mul_f16_e32 v68, 0xbacd, v7
	v_fma_f16 v44, v6, s26, -v44
	v_add_f16_e32 v65, v65, v69
	v_fma_f16 v69, v13, s27, v68
	v_add_f16_e32 v44, v44, v66
	v_fma_f16 v66, v13, s25, v68
	v_mul_f16_e32 v68, 0x3bf7, v14
	v_add_f16_e32 v69, v69, v72
	v_add_f16_e32 v66, v66, v70
	v_fma_f16 v70, v6, s5, v68
	v_mul_f16_e32 v72, 0x2de8, v7
	v_fma_f16 v68, v6, s5, -v68
	v_add_f16_e32 v70, v70, v73
	v_fma_f16 v73, v13, s4, v72
	v_add_f16_e32 v68, v68, v71
	v_fma_f16 v71, v13, s6, v72
	v_mul_f16_e32 v72, 0xb964, v14
	v_fma_f16 v74, v6, s15, v72
	v_fma_f16 v72, v6, s15, -v72
	v_add_f16_e32 v71, v71, v75
	v_mul_f16_e32 v75, 0x39e9, v7
	v_add_f16_e32 v72, v72, v76
	v_mul_f16_e32 v76, 0xb1e1, v14
	v_add_f16_e32 v73, v73, v77
	v_add_f16_e32 v74, v74, v78
	v_fma_f16 v77, v13, s16, v75
	v_fma_f16 v75, v13, s14, v75
	;; [unrolled: 1-line block ×3, first 2 shown]
	v_fma_f16 v76, v6, s29, -v76
	v_mul_f16_e32 v14, 0x3b29, v14
	v_add_f16_e32 v75, v75, v79
	v_mul_f16_e32 v79, 0xbbdd, v7
	v_add_f16_e32 v76, v76, v80
	v_fma_f16 v80, v6, s12, v14
	v_mul_f16_e32 v7, 0x3722, v7
	v_fma_f16 v6, v6, s12, -v14
	v_add_f16_e32 v78, v78, v82
	v_fma_f16 v82, v13, s7, v7
	v_add_f16_e32 v4, v6, v4
	v_fma_f16 v6, v13, s13, v7
	v_add_f16_e32 v7, v10, v12
	v_sub_f16_e32 v10, v10, v12
	v_add_f16_e32 v5, v6, v5
	v_add_f16_e32 v6, v29, v11
	v_mul_f16_e32 v12, 0xb836, v10
	v_add_f16_e32 v77, v77, v81
	v_fma_f16 v81, v13, s30, v79
	v_fma_f16 v79, v13, s28, v79
	v_sub_f16_e32 v11, v29, v11
	v_fma_f16 v13, v6, s26, v12
	v_mul_f16_e32 v14, 0xbacd, v7
	v_fma_f16 v12, v6, s26, -v12
	v_fma_f16 v29, v11, s27, v14
	v_add_f16_e32 v12, v12, v15
	v_fma_f16 v14, v11, s25, v14
	v_mul_f16_e32 v15, 0x3b29, v10
	v_add_f16_e32 v13, v13, v30
	v_add_f16_e32 v14, v14, v31
	v_fma_f16 v30, v6, s12, v15
	v_mul_f16_e32 v31, 0x3722, v7
	v_fma_f16 v15, v6, s12, -v15
	v_add_f16_e32 v32, v15, v32
	v_fma_f16 v15, v11, s13, v31
	v_add_f16_e32 v30, v30, v38
	v_fma_f16 v38, v11, s7, v31
	v_add_f16_e32 v31, v15, v37
	v_mul_f16_e32 v15, 0xbbf7, v10
	v_fma_f16 v37, v6, s5, v15
	v_add_f16_e32 v37, v37, v41
	v_mul_f16_e32 v41, 0x2de8, v7
	v_fma_f16 v15, v6, s5, -v15
	v_add_f16_e32 v39, v15, v39
	v_fma_f16 v15, v11, s4, v41
	v_add_f16_e32 v40, v15, v40
	v_mul_f16_e32 v15, 0x3a62, v10
	v_add_f16_e32 v29, v29, v42
	v_add_f16_e32 v38, v38, v43
	v_fma_f16 v42, v11, s6, v41
	v_fma_f16 v41, v6, s23, v15
	v_mul_f16_e32 v43, 0xb8d2, v7
	v_fma_f16 v15, v6, s23, -v15
	v_add_f16_e32 v44, v15, v44
	v_fma_f16 v15, v11, s24, v43
	v_add_f16_e32 v42, v42, v64
	v_fma_f16 v64, v11, s22, v43
	v_add_f16_e32 v43, v15, v66
	v_mul_f16_e32 v15, 0xb5c8, v10
	v_add_f16_e32 v41, v41, v65
	v_fma_f16 v65, v6, s20, v15
	v_mul_f16_e32 v66, 0x3b76, v7
	v_fma_f16 v15, v6, s20, -v15
	v_add_f16_e32 v68, v15, v68
	v_fma_f16 v15, v11, s19, v66
	v_add_f16_e32 v64, v64, v69
	v_fma_f16 v69, v11, s31, v66
	v_add_f16_e32 v66, v15, v71
	v_mul_f16_e32 v15, 0xb1e1, v10
	v_add_f16_e32 v65, v65, v70
	v_fma_f16 v70, v6, s29, v15
	v_mul_f16_e32 v71, 0xbbdd, v7
	v_fma_f16 v15, v6, s29, -v15
	v_add_f16_e32 v96, v96, v100
	v_add_f16_e32 v91, v91, v95
	;; [unrolled: 1-line block ×3, first 2 shown]
	v_fma_f16 v15, v11, s28, v71
	v_add_f16_e32 v92, v92, v96
	v_add_f16_e32 v87, v87, v91
	;; [unrolled: 1-line block ×3, first 2 shown]
	v_fma_f16 v73, v11, s30, v71
	v_add_f16_e32 v71, v15, v75
	v_mul_f16_e32 v15, 0x3964, v10
	v_add_f16_e32 v88, v88, v92
	v_add_f16_e32 v83, v83, v87
	;; [unrolled: 1-line block ×3, first 2 shown]
	v_fma_f16 v74, v6, s15, v15
	v_mul_f16_e32 v75, 0x39e9, v7
	v_fma_f16 v15, v6, s15, -v15
	v_add_f16_e32 v98, v98, v101
	v_add_f16_e32 v84, v84, v88
	;; [unrolled: 1-line block ×4, first 2 shown]
	v_fma_f16 v15, v11, s16, v75
	v_mul_f16_e32 v10, 0xbbb2, v10
	v_add_f16_e32 v94, v94, v98
	v_add_f16_e32 v80, v80, v84
	;; [unrolled: 1-line block ×3, first 2 shown]
	v_fma_f16 v77, v11, s14, v75
	v_add_f16_e32 v75, v15, v79
	v_fma_f16 v15, v6, s18, v10
	v_mul_f16_e32 v7, 0xb461, v7
	v_fma_f16 v6, v6, s18, -v10
	v_add_f16_e32 v90, v90, v94
	v_add_f16_e32 v74, v74, v78
	;; [unrolled: 1-line block ×3, first 2 shown]
	v_fma_f16 v15, v11, s21, v7
	v_add_f16_e32 v4, v6, v4
	v_fma_f16 v6, v11, s17, v7
	v_add_f16_e32 v7, v3, v9
	v_sub_f16_e32 v3, v3, v9
	v_add_f16_e32 v86, v86, v90
	v_add_f16_e32 v5, v6, v5
	;; [unrolled: 1-line block ×3, first 2 shown]
	v_sub_f16_e32 v2, v2, v8
	v_mul_f16_e32 v8, 0xb1e1, v3
	v_add_f16_e32 v82, v82, v86
	v_fma_f16 v9, v6, s29, v8
	v_mul_f16_e32 v10, 0xbbdd, v7
	v_fma_f16 v8, v6, s29, -v8
	v_add_f16_e32 v79, v15, v82
	v_fma_f16 v11, v2, s30, v10
	v_add_f16_e32 v15, v8, v12
	v_fma_f16 v8, v2, s28, v10
	v_add_f16_e32 v11, v11, v29
	v_add_f16_e32 v29, v8, v14
	v_mul_f16_e32 v8, 0x35c8, v3
	v_fma_f16 v10, v6, s20, v8
	v_mul_f16_e32 v12, 0x3b76, v7
	v_fma_f16 v8, v6, s20, -v8
	v_add_f16_e32 v14, v8, v32
	v_fma_f16 v8, v2, s31, v12
	v_add_f16_e32 v10, v10, v30
	v_add_f16_e32 v30, v8, v31
	v_mul_f16_e32 v8, 0xb836, v3
	v_add_f16_e32 v9, v9, v13
	v_fma_f16 v13, v2, s19, v12
	v_fma_f16 v12, v6, s26, v8
	v_mul_f16_e32 v31, 0xbacd, v7
	v_fma_f16 v8, v6, s26, -v8
	v_fma_f16 v32, v2, s27, v31
	v_add_f16_e32 v8, v8, v39
	v_fma_f16 v31, v2, s25, v31
	v_mul_f16_e32 v39, 0x39e9, v7
	v_add_f16_e32 v12, v12, v37
	v_add_f16_e32 v31, v31, v40
	v_mul_f16_e32 v37, 0x3964, v3
	v_fma_f16 v40, v2, s14, v39
	v_fma_f16 v39, v2, s16, v39
	v_add_f16_e32 v97, v97, v99
	v_add_f16_e32 v13, v13, v38
	v_fma_f16 v38, v6, s15, v37
	v_fma_f16 v37, v6, s15, -v37
	v_add_f16_e32 v39, v39, v43
	v_mul_f16_e32 v43, 0xb8d2, v7
	v_add_f16_e32 v93, v93, v97
	v_add_f16_e32 v38, v38, v41
	;; [unrolled: 1-line block ×3, first 2 shown]
	v_mul_f16_e32 v41, 0xba62, v3
	v_fma_f16 v44, v2, s24, v43
	v_fma_f16 v43, v2, s22, v43
	v_add_f16_e32 v89, v89, v93
	v_add_f16_e32 v32, v32, v42
	v_fma_f16 v42, v6, s23, v41
	v_fma_f16 v41, v6, s23, -v41
	v_add_f16_e32 v43, v43, v66
	v_mul_f16_e32 v66, 0x3722, v7
	v_add_f16_e32 v85, v85, v89
	v_add_f16_e32 v40, v40, v64
	;; [unrolled: 1-line block ×3, first 2 shown]
	v_mul_f16_e32 v64, 0x3b29, v3
	v_fma_f16 v68, v2, s7, v66
	v_fma_f16 v66, v2, s13, v66
	v_add_f16_e32 v81, v81, v85
	v_add_f16_e32 v42, v42, v65
	;; [unrolled: 1-line block ×3, first 2 shown]
	v_fma_f16 v65, v6, s12, v64
	v_fma_f16 v64, v6, s12, -v64
	v_add_f16_e32 v66, v66, v71
	v_mul_f16_e32 v69, 0xbbb2, v3
	v_mul_f16_e32 v71, 0xb461, v7
	v_pack_b32_f16 v0, v0, v1
	v_pack_b32_f16 v1, v9, v11
	v_add_f16_e32 v77, v77, v81
	v_add_f16_e32 v65, v65, v70
	;; [unrolled: 1-line block ×3, first 2 shown]
	v_fma_f16 v70, v6, s18, v69
	v_fma_f16 v72, v2, s21, v71
	v_mul_f16_e32 v3, 0x3bf7, v3
	v_mul_f16_e32 v7, 0x2de8, v7
	s_waitcnt lgkmcnt(0)
	; wave barrier
	ds_write2_b32 v67, v0, v1 offset1:17
	v_pack_b32_f16 v0, v10, v13
	v_pack_b32_f16 v1, v12, v32
	v_add_f16_e32 v68, v68, v73
	v_add_f16_e32 v70, v70, v74
	;; [unrolled: 1-line block ×3, first 2 shown]
	v_fma_f16 v71, v2, s17, v71
	v_fma_f16 v73, v6, s5, v3
	;; [unrolled: 1-line block ×3, first 2 shown]
	v_fma_f16 v3, v6, s5, -v3
	v_fma_f16 v2, v2, s6, v7
	ds_write2_b32 v67, v0, v1 offset0:34 offset1:51
	v_pack_b32_f16 v0, v38, v40
	v_pack_b32_f16 v1, v42, v44
	v_fma_f16 v69, v6, s18, -v69
	v_add_f16_e32 v73, v73, v78
	v_add_f16_e32 v74, v74, v79
	;; [unrolled: 1-line block ×4, first 2 shown]
	ds_write2_b32 v67, v0, v1 offset0:68 offset1:85
	v_pack_b32_f16 v0, v65, v68
	v_pack_b32_f16 v1, v70, v72
	v_add_f16_e32 v69, v69, v76
	v_add_f16_e32 v71, v71, v75
	ds_write2_b32 v67, v0, v1 offset0:102 offset1:119
	v_pack_b32_f16 v0, v73, v74
	v_pack_b32_f16 v1, v3, v2
	ds_write2_b32 v67, v0, v1 offset0:136 offset1:153
	v_pack_b32_f16 v0, v69, v71
	v_pack_b32_f16 v1, v64, v66
	;; [unrolled: 3-line block ×4, first 2 shown]
	ds_write2_b32 v67, v0, v1 offset0:238 offset1:255
	v_pack_b32_f16 v0, v15, v29
	ds_write_b32 v67, v0 offset:1088
	v_add_u32_e32 v0, 0x200, v45
	s_waitcnt lgkmcnt(0)
	; wave barrier
	s_waitcnt lgkmcnt(0)
	ds_read2_b32 v[4:5], v45 offset1:51
	ds_read2_b32 v[0:1], v0 offset0:76 offset1:161
	ds_read2_b32 v[12:13], v36 offset0:66 offset1:117
	;; [unrolled: 1-line block ×6, first 2 shown]
	ds_read_b32 v31, v45 offset:3128
	s_and_saveexec_b64 s[4:5], s[0:1]
	s_cbranch_execz .LBB0_7
; %bb.6:
	ds_read_b32 v14, v45 offset:1020
	ds_read_b32 v15, v45 offset:2176
	;; [unrolled: 1-line block ×3, first 2 shown]
	s_waitcnt lgkmcnt(2)
	v_lshrrev_b32_e32 v30, 16, v14
	s_waitcnt lgkmcnt(1)
	v_lshrrev_b32_e32 v29, 16, v15
	;; [unrolled: 2-line block ×3, first 2 shown]
.LBB0_7:
	s_or_b64 exec, exec, s[4:5]
	s_waitcnt lgkmcnt(6)
	v_lshrrev_b32_e32 v37, 16, v1
	v_mul_f16_sdwa v70, v19, v37 dst_sel:DWORD dst_unused:UNUSED_PAD src0_sel:WORD_1 src1_sel:DWORD
	s_waitcnt lgkmcnt(5)
	v_lshrrev_b32_e32 v38, 16, v12
	v_fma_f16 v70, v19, v1, v70
	v_mul_f16_sdwa v1, v19, v1 dst_sel:DWORD dst_unused:UNUSED_PAD src0_sel:WORD_1 src1_sel:DWORD
	v_fma_f16 v1, v19, v37, -v1
	v_mul_f16_sdwa v19, v20, v38 dst_sel:DWORD dst_unused:UNUSED_PAD src0_sel:WORD_1 src1_sel:DWORD
	s_waitcnt lgkmcnt(4)
	v_lshrrev_b32_e32 v40, 16, v10
	v_fma_f16 v19, v20, v12, v19
	v_mul_f16_sdwa v12, v20, v12 dst_sel:DWORD dst_unused:UNUSED_PAD src0_sel:WORD_1 src1_sel:DWORD
	v_fma_f16 v12, v20, v38, -v12
	v_mul_f16_sdwa v20, v21, v40 dst_sel:DWORD dst_unused:UNUSED_PAD src0_sel:WORD_1 src1_sel:DWORD
	v_lshrrev_b32_e32 v41, 16, v13
	v_fma_f16 v20, v21, v10, v20
	v_mul_f16_sdwa v10, v21, v10 dst_sel:DWORD dst_unused:UNUSED_PAD src0_sel:WORD_1 src1_sel:DWORD
	v_fma_f16 v10, v21, v40, -v10
	v_mul_f16_sdwa v21, v22, v41 dst_sel:DWORD dst_unused:UNUSED_PAD src0_sel:WORD_1 src1_sel:DWORD
	;; [unrolled: 5-line block ×3, first 2 shown]
	s_waitcnt lgkmcnt(2)
	v_lshrrev_b32_e32 v44, 16, v8
	v_fma_f16 v22, v23, v11, v22
	v_mul_f16_sdwa v11, v23, v11 dst_sel:DWORD dst_unused:UNUSED_PAD src0_sel:WORD_1 src1_sel:DWORD
	v_fma_f16 v11, v23, v43, -v11
	v_mul_f16_sdwa v23, v24, v44 dst_sel:DWORD dst_unused:UNUSED_PAD src0_sel:WORD_1 src1_sel:DWORD
	s_waitcnt lgkmcnt(1)
	v_lshrrev_b32_e32 v65, 16, v6
	v_fma_f16 v23, v24, v8, v23
	v_mul_f16_sdwa v8, v24, v8 dst_sel:DWORD dst_unused:UNUSED_PAD src0_sel:WORD_1 src1_sel:DWORD
	v_fma_f16 v8, v24, v44, -v8
	v_mul_f16_sdwa v24, v25, v65 dst_sel:DWORD dst_unused:UNUSED_PAD src0_sel:WORD_1 src1_sel:DWORD
	v_lshrrev_b32_e32 v66, 16, v9
	v_fma_f16 v24, v25, v6, v24
	v_mul_f16_sdwa v6, v25, v6 dst_sel:DWORD dst_unused:UNUSED_PAD src0_sel:WORD_1 src1_sel:DWORD
	v_fma_f16 v6, v25, v65, -v6
	v_mul_f16_sdwa v25, v26, v66 dst_sel:DWORD dst_unused:UNUSED_PAD src0_sel:WORD_1 src1_sel:DWORD
	;; [unrolled: 5-line block ×3, first 2 shown]
	s_waitcnt lgkmcnt(0)
	v_lshrrev_b32_e32 v69, 16, v31
	v_fma_f16 v26, v27, v7, v26
	v_mul_f16_sdwa v7, v27, v7 dst_sel:DWORD dst_unused:UNUSED_PAD src0_sel:WORD_1 src1_sel:DWORD
	v_fma_f16 v7, v27, v68, -v7
	v_mul_f16_sdwa v27, v28, v69 dst_sel:DWORD dst_unused:UNUSED_PAD src0_sel:WORD_1 src1_sel:DWORD
	v_fma_f16 v27, v28, v31, v27
	v_mul_f16_sdwa v31, v28, v31 dst_sel:DWORD dst_unused:UNUSED_PAD src0_sel:WORD_1 src1_sel:DWORD
	v_add_f16_e32 v37, v70, v19
	v_lshrrev_b32_e32 v32, 16, v4
	v_fma_f16 v28, v28, v69, -v31
	v_add_f16_e32 v31, v4, v70
	v_fma_f16 v4, v37, -0.5, v4
	v_sub_f16_e32 v37, v1, v12
	s_mov_b32 s6, 0xbaee
	s_movk_i32 s7, 0x3aee
	v_fma_f16 v38, v37, s6, v4
	v_fma_f16 v4, v37, s7, v4
	v_add_f16_e32 v37, v32, v1
	v_add_f16_e32 v1, v1, v12
	;; [unrolled: 1-line block ×3, first 2 shown]
	v_fma_f16 v1, v1, -0.5, v32
	v_sub_f16_e32 v12, v70, v19
	v_add_f16_e32 v32, v20, v21
	v_lshrrev_b32_e32 v39, 16, v5
	v_add_f16_e32 v31, v31, v19
	v_fma_f16 v19, v12, s7, v1
	v_fma_f16 v1, v12, s6, v1
	v_add_f16_e32 v12, v5, v20
	v_fma_f16 v5, v32, -0.5, v5
	v_sub_f16_e32 v32, v10, v13
	v_fma_f16 v40, v32, s6, v5
	v_fma_f16 v5, v32, s7, v5
	v_add_f16_e32 v32, v39, v10
	v_add_f16_e32 v10, v10, v13
	v_add_f16_e32 v12, v12, v21
	v_add_f16_e32 v32, v32, v13
	v_fma_f16 v10, v10, -0.5, v39
	v_sub_f16_e32 v13, v20, v21
	v_add_f16_e32 v21, v22, v23
	v_lshrrev_b32_e32 v42, 16, v2
	v_fma_f16 v20, v13, s7, v10
	v_fma_f16 v10, v13, s6, v10
	v_add_f16_e32 v13, v2, v22
	v_fma_f16 v2, v21, -0.5, v2
	v_sub_f16_e32 v21, v11, v8
	v_fma_f16 v39, v21, s6, v2
	v_fma_f16 v2, v21, s7, v2
	v_add_f16_e32 v21, v42, v11
	v_add_f16_e32 v21, v21, v8
	v_add_f16_e32 v8, v11, v8
	v_add_f16_e32 v13, v13, v23
	v_fma_f16 v8, v8, -0.5, v42
	v_sub_f16_e32 v11, v22, v23
	v_add_f16_e32 v23, v24, v25
	v_lshrrev_b32_e32 v64, 16, v3
	;; [unrolled: 15-line block ×3, first 2 shown]
	v_fma_f16 v24, v9, s7, v6
	v_fma_f16 v6, v9, s6, v6
	v_add_f16_e32 v9, v0, v26
	v_fma_f16 v0, v25, -0.5, v0
	v_sub_f16_e32 v25, v7, v28
	v_fma_f16 v42, v25, s6, v0
	v_fma_f16 v0, v25, s7, v0
	v_add_f16_e32 v25, v67, v7
	v_add_f16_e32 v7, v7, v28
	v_fma_f16 v7, v7, -0.5, v67
	v_sub_f16_e32 v26, v26, v27
	v_pack_b32_f16 v1, v4, v1
	v_add_f16_e32 v9, v9, v27
	v_fma_f16 v27, v26, s7, v7
	v_fma_f16 v7, v26, s6, v7
	v_pack_b32_f16 v26, v31, v37
	v_pack_b32_f16 v19, v38, v19
	ds_write_b32 v45, v1 offset:2312
	v_pack_b32_f16 v1, v12, v32
	ds_write_b32 v45, v19 offset:1156
	ds_write2_b32 v45, v26, v1 offset1:51
	v_pack_b32_f16 v1, v40, v20
	v_pack_b32_f16 v4, v5, v10
	;; [unrolled: 1-line block ×3, first 2 shown]
	ds_write2_b32 v35, v1, v10 offset0:84 offset1:135
	v_pack_b32_f16 v1, v2, v8
	v_add_f16_e32 v25, v25, v28
	v_pack_b32_f16 v5, v13, v21
	ds_write2_b32 v36, v4, v1 offset0:117 offset1:168
	v_pack_b32_f16 v1, v11, v23
	v_pack_b32_f16 v2, v3, v6
	ds_write2_b32 v45, v5, v1 offset0:102 offset1:153
	ds_write_b32 v45, v2 offset:2924
	v_pack_b32_f16 v2, v9, v25
	v_pack_b32_f16 v1, v41, v24
	ds_write_b32 v45, v2 offset:816
	v_pack_b32_f16 v2, v42, v27
	v_pack_b32_f16 v0, v0, v7
	ds_write2_b32 v35, v1, v2 offset0:186 offset1:237
	ds_write_b32 v45, v0 offset:3128
	s_and_saveexec_b64 s[4:5], s[0:1]
	s_cbranch_execz .LBB0_9
; %bb.8:
	v_mul_f16_sdwa v0, v17, v15 dst_sel:DWORD dst_unused:UNUSED_PAD src0_sel:WORD_1 src1_sel:DWORD
	v_mul_f16_sdwa v1, v18, v33 dst_sel:DWORD dst_unused:UNUSED_PAD src0_sel:WORD_1 src1_sel:DWORD
	v_fma_f16 v0, v17, v29, -v0
	v_fma_f16 v1, v18, v34, -v1
	v_mul_f16_sdwa v3, v17, v29 dst_sel:DWORD dst_unused:UNUSED_PAD src0_sel:WORD_1 src1_sel:DWORD
	v_mul_f16_sdwa v4, v18, v34 dst_sel:DWORD dst_unused:UNUSED_PAD src0_sel:WORD_1 src1_sel:DWORD
	v_add_f16_e32 v2, v0, v1
	v_fma_f16 v3, v17, v15, v3
	v_fma_f16 v4, v18, v33, v4
	v_fma_f16 v2, v2, -0.5, v30
	v_sub_f16_e32 v5, v3, v4
	v_add_f16_e32 v7, v3, v4
	v_fma_f16 v6, v5, s6, v2
	v_fma_f16 v2, v5, s7, v2
	v_add_f16_e32 v5, v30, v0
	v_fma_f16 v7, v7, -0.5, v14
	v_sub_f16_e32 v0, v0, v1
	v_add_f16_e32 v5, v5, v1
	v_fma_f16 v1, v0, s7, v7
	v_fma_f16 v0, v0, s6, v7
	v_add_f16_e32 v3, v14, v3
	v_add_f16_e32 v3, v3, v4
	v_pack_b32_f16 v0, v0, v2
	v_pack_b32_f16 v3, v3, v5
	ds_write_b32 v45, v0 offset:2176
	v_pack_b32_f16 v0, v1, v6
	ds_write_b32 v45, v3 offset:1020
	ds_write_b32 v45, v0 offset:3332
.LBB0_9:
	s_or_b64 exec, exec, s[4:5]
	s_waitcnt lgkmcnt(0)
	; wave barrier
	s_waitcnt lgkmcnt(0)
	ds_read2_b32 v[0:1], v45 offset1:51
	s_mov_b32 s4, 0x8b5e3104
	s_mov_b32 s5, 0x3f52e5b8
	v_mad_u64_u32 v[4:5], s[0:1], s10, v16, 0
	s_waitcnt lgkmcnt(0)
	v_lshrrev_b32_e32 v7, 16, v0
	v_mul_f16_sdwa v2, v63, v7 dst_sel:DWORD dst_unused:UNUSED_PAD src0_sel:WORD_1 src1_sel:DWORD
	v_fma_f16 v2, v63, v0, v2
	v_cvt_f32_f16_e32 v2, v2
	s_movk_i32 s6, 0x1ff
	v_mad_u64_u32 v[5:6], s[0:1], s11, v16, v[5:6]
	v_cvt_f64_f32_e32 v[2:3], v2
	s_movk_i32 s7, 0xffe
	v_mul_f16_sdwa v0, v63, v0 dst_sel:DWORD dst_unused:UNUSED_PAD src0_sel:WORD_1 src1_sel:DWORD
	v_fma_f16 v0, v63, v7, -v0
	v_mul_f64 v[2:3], v[2:3], s[4:5]
	v_cvt_f32_f16_e32 v7, v0
	v_mov_b32_e32 v0, 0x7c00
	s_movk_i32 s10, 0x40f
	s_mov_b32 s11, 0x8000
	v_lshrrev_b32_e32 v11, 16, v1
	v_and_or_b32 v2, v3, s6, v2
	v_cmp_ne_u32_e32 vcc, 0, v2
	v_lshrrev_b32_e32 v6, 8, v3
	v_bfe_u32 v8, v3, 20, 11
	v_cndmask_b32_e64 v2, 0, 1, vcc
	v_sub_u32_e32 v9, 0x3f1, v8
	v_and_or_b32 v2, v6, s7, v2
	v_med3_i32 v6, v9, 0, 13
	v_or_b32_e32 v9, 0x1000, v2
	v_lshrrev_b32_e32 v10, v6, v9
	v_lshlrev_b32_e32 v6, v6, v10
	v_cmp_ne_u32_e32 vcc, v6, v9
	v_cndmask_b32_e64 v6, 0, 1, vcc
	v_add_u32_e32 v8, 0xfffffc10, v8
	v_or_b32_e32 v6, v10, v6
	v_lshl_or_b32 v9, v8, 12, v2
	v_cmp_gt_i32_e32 vcc, 1, v8
	v_cndmask_b32_e32 v6, v9, v6, vcc
	v_and_b32_e32 v9, 7, v6
	v_cmp_lt_i32_e32 vcc, 5, v9
	v_cmp_eq_u32_e64 s[0:1], 3, v9
	v_lshrrev_b32_e32 v6, 2, v6
	s_or_b64 vcc, s[0:1], vcc
	v_addc_co_u32_e32 v9, vcc, 0, v6, vcc
	v_cvt_f64_f32_e32 v[6:7], v7
	v_cmp_gt_i32_e32 vcc, 31, v8
	v_cndmask_b32_e32 v9, v0, v9, vcc
	v_cmp_ne_u32_e32 vcc, 0, v2
	v_mul_f64 v[6:7], v[6:7], s[4:5]
	v_cndmask_b32_e64 v2, 0, 1, vcc
	v_lshl_or_b32 v2, v2, 9, v0
	v_cmp_eq_u32_e32 vcc, s10, v8
	v_cndmask_b32_e32 v2, v9, v2, vcc
	v_lshrrev_b32_e32 v3, 16, v3
	v_and_or_b32 v8, v3, s11, v2
	v_and_b32_e32 v8, 0xffff, v8
	v_and_or_b32 v2, v7, s6, v6
	v_cmp_ne_u32_e32 vcc, 0, v2
	v_cndmask_b32_e64 v2, 0, 1, vcc
	v_lshrrev_b32_e32 v3, 8, v7
	v_bfe_u32 v6, v7, 20, 11
	v_and_or_b32 v2, v3, s7, v2
	v_sub_u32_e32 v9, 0x3f1, v6
	v_or_b32_e32 v3, 0x1000, v2
	v_med3_i32 v9, v9, 0, 13
	v_lshrrev_b32_e32 v10, v9, v3
	v_lshlrev_b32_e32 v9, v9, v10
	v_cmp_ne_u32_e32 vcc, v9, v3
	v_cndmask_b32_e64 v3, 0, 1, vcc
	v_add_u32_e32 v6, 0xfffffc10, v6
	v_or_b32_e32 v3, v10, v3
	v_lshl_or_b32 v9, v6, 12, v2
	v_cmp_gt_i32_e32 vcc, 1, v6
	v_cndmask_b32_e32 v3, v9, v3, vcc
	v_and_b32_e32 v9, 7, v3
	v_cmp_lt_i32_e32 vcc, 5, v9
	v_cmp_eq_u32_e64 s[0:1], 3, v9
	v_lshrrev_b32_e32 v3, 2, v3
	s_or_b64 vcc, s[0:1], vcc
	v_addc_co_u32_e32 v3, vcc, 0, v3, vcc
	v_cmp_gt_i32_e32 vcc, 31, v6
	v_cndmask_b32_e32 v9, v0, v3, vcc
	v_cmp_ne_u32_e32 vcc, 0, v2
	v_cndmask_b32_e64 v2, 0, 1, vcc
	v_lshl_or_b32 v10, v2, 9, v0
	v_mad_u64_u32 v[2:3], s[0:1], s8, v61, 0
	v_cmp_eq_u32_e32 vcc, s10, v6
	v_cndmask_b32_e32 v9, v9, v10, vcc
	v_lshrrev_b32_e32 v10, 16, v7
	v_mad_u64_u32 v[6:7], s[0:1], s9, v61, v[3:4]
	v_mul_f16_sdwa v3, v62, v11 dst_sel:DWORD dst_unused:UNUSED_PAD src0_sel:WORD_1 src1_sel:DWORD
	v_fma_f16 v3, v62, v1, v3
	v_cvt_f32_f16_e32 v7, v3
	v_mov_b32_e32 v3, v6
	v_lshlrev_b64 v[4:5], 2, v[4:5]
	v_and_or_b32 v9, v10, s11, v9
	v_cvt_f64_f32_e32 v[6:7], v7
	v_lshl_or_b32 v8, v9, 16, v8
	v_mov_b32_e32 v9, s3
	v_add_co_u32_e32 v4, vcc, s2, v4
	v_mul_f64 v[6:7], v[6:7], s[4:5]
	v_lshlrev_b64 v[2:3], 2, v[2:3]
	v_addc_co_u32_e32 v5, vcc, v9, v5, vcc
	v_add_co_u32_e32 v2, vcc, v4, v2
	v_addc_co_u32_e32 v3, vcc, v5, v3, vcc
	v_and_or_b32 v4, v7, s6, v6
	v_cmp_ne_u32_e32 vcc, 0, v4
	v_cndmask_b32_e64 v4, 0, 1, vcc
	v_lshrrev_b32_e32 v5, 8, v7
	v_and_or_b32 v6, v5, s7, v4
	v_bfe_u32 v5, v7, 20, 11
	global_store_dword v[2:3], v8, off
	v_sub_u32_e32 v8, 0x3f1, v5
	v_or_b32_e32 v4, 0x1000, v6
	v_med3_i32 v8, v8, 0, 13
	v_lshrrev_b32_e32 v9, v8, v4
	v_lshlrev_b32_e32 v8, v8, v9
	v_mul_f16_sdwa v1, v62, v1 dst_sel:DWORD dst_unused:UNUSED_PAD src0_sel:WORD_1 src1_sel:DWORD
	v_cmp_ne_u32_e32 vcc, v8, v4
	v_fma_f16 v1, v62, v11, -v1
	v_cndmask_b32_e64 v4, 0, 1, vcc
	v_add_u32_e32 v8, 0xfffffc10, v5
	v_cvt_f32_f16_e32 v1, v1
	v_or_b32_e32 v4, v9, v4
	v_lshl_or_b32 v5, v8, 12, v6
	v_cmp_gt_i32_e32 vcc, 1, v8
	v_cndmask_b32_e32 v4, v5, v4, vcc
	v_and_b32_e32 v5, 7, v4
	v_cmp_lt_i32_e32 vcc, 5, v5
	v_cmp_eq_u32_e64 s[0:1], 3, v5
	v_lshrrev_b32_e32 v9, 2, v4
	v_cvt_f64_f32_e32 v[4:5], v1
	s_or_b64 vcc, s[0:1], vcc
	v_addc_co_u32_e32 v1, vcc, 0, v9, vcc
	v_mul_f64 v[4:5], v[4:5], s[4:5]
	v_cmp_gt_i32_e32 vcc, 31, v8
	v_cndmask_b32_e32 v1, v0, v1, vcc
	v_cmp_ne_u32_e32 vcc, 0, v6
	v_cndmask_b32_e64 v6, 0, 1, vcc
	v_lshl_or_b32 v6, v6, 9, v0
	v_cmp_eq_u32_e32 vcc, s10, v8
	v_cndmask_b32_e32 v1, v1, v6, vcc
	v_and_or_b32 v4, v5, s6, v4
	v_lshrrev_b32_e32 v6, 16, v7
	v_cmp_ne_u32_e32 vcc, 0, v4
	v_and_or_b32 v1, v6, s11, v1
	v_cndmask_b32_e64 v4, 0, 1, vcc
	v_lshrrev_b32_e32 v6, 8, v5
	v_bfe_u32 v7, v5, 20, 11
	v_and_or_b32 v4, v6, s7, v4
	v_sub_u32_e32 v8, 0x3f1, v7
	v_or_b32_e32 v6, 0x1000, v4
	v_med3_i32 v8, v8, 0, 13
	v_lshrrev_b32_e32 v9, v8, v6
	v_lshlrev_b32_e32 v8, v8, v9
	v_cmp_ne_u32_e32 vcc, v8, v6
	v_cndmask_b32_e64 v6, 0, 1, vcc
	v_add_u32_e32 v8, 0xfffffc10, v7
	v_or_b32_e32 v6, v9, v6
	v_lshl_or_b32 v7, v8, 12, v4
	v_cmp_gt_i32_e32 vcc, 1, v8
	v_cndmask_b32_e32 v6, v7, v6, vcc
	v_and_b32_e32 v7, 7, v6
	v_cmp_lt_i32_e32 vcc, 5, v7
	v_cmp_eq_u32_e64 s[0:1], 3, v7
	v_lshrrev_b32_e32 v6, 2, v6
	s_or_b64 vcc, s[0:1], vcc
	v_addc_co_u32_e32 v6, vcc, 0, v6, vcc
	v_cmp_gt_i32_e32 vcc, 31, v8
	v_cndmask_b32_e32 v9, v0, v6, vcc
	ds_read2_b32 v[6:7], v45 offset0:102 offset1:153
	v_cmp_ne_u32_e32 vcc, 0, v4
	v_cndmask_b32_e64 v4, 0, 1, vcc
	v_lshl_or_b32 v4, v4, 9, v0
	v_cmp_eq_u32_e32 vcc, s10, v8
	s_waitcnt lgkmcnt(0)
	v_lshrrev_b32_e32 v8, 16, v6
	v_cndmask_b32_e32 v4, v9, v4, vcc
	v_mul_f16_sdwa v9, v60, v8 dst_sel:DWORD dst_unused:UNUSED_PAD src0_sel:WORD_1 src1_sel:DWORD
	v_fma_f16 v9, v60, v6, v9
	v_cvt_f32_f16_e32 v9, v9
	v_lshrrev_b32_e32 v5, 16, v5
	v_and_or_b32 v4, v5, s11, v4
	v_and_b32_e32 v1, 0xffff, v1
	v_lshl_or_b32 v10, v4, 16, v1
	v_cvt_f64_f32_e32 v[4:5], v9
	s_mul_i32 s0, s9, 0xcc
	s_mul_hi_u32 s2, s8, 0xcc
	s_add_i32 s2, s2, s0
	v_mul_f64 v[4:5], v[4:5], s[4:5]
	s_mul_i32 s3, s8, 0xcc
	v_mov_b32_e32 v9, s2
	v_add_co_u32_e32 v1, vcc, s3, v2
	v_addc_co_u32_e32 v2, vcc, v3, v9, vcc
	global_store_dword v[1:2], v10, off
	v_and_or_b32 v3, v5, s6, v4
	v_cmp_ne_u32_e32 vcc, 0, v3
	v_cndmask_b32_e64 v3, 0, 1, vcc
	v_lshrrev_b32_e32 v4, 8, v5
	v_and_or_b32 v9, v4, s7, v3
	v_bfe_u32 v4, v5, 20, 11
	v_sub_u32_e32 v10, 0x3f1, v4
	v_or_b32_e32 v3, 0x1000, v9
	v_med3_i32 v10, v10, 0, 13
	v_lshrrev_b32_e32 v11, v10, v3
	v_lshlrev_b32_e32 v10, v10, v11
	v_mul_f16_sdwa v6, v60, v6 dst_sel:DWORD dst_unused:UNUSED_PAD src0_sel:WORD_1 src1_sel:DWORD
	v_cmp_ne_u32_e32 vcc, v10, v3
	v_fma_f16 v6, v60, v8, -v6
	v_cndmask_b32_e64 v3, 0, 1, vcc
	v_add_u32_e32 v10, 0xfffffc10, v4
	v_cvt_f32_f16_e32 v6, v6
	v_or_b32_e32 v3, v11, v3
	v_lshl_or_b32 v4, v10, 12, v9
	v_cmp_gt_i32_e32 vcc, 1, v10
	v_cndmask_b32_e32 v3, v4, v3, vcc
	v_and_b32_e32 v4, 7, v3
	v_cmp_lt_i32_e32 vcc, 5, v4
	v_cmp_eq_u32_e64 s[0:1], 3, v4
	v_lshrrev_b32_e32 v8, 2, v3
	v_cvt_f64_f32_e32 v[3:4], v6
	s_or_b64 vcc, s[0:1], vcc
	v_addc_co_u32_e32 v6, vcc, 0, v8, vcc
	v_mul_f64 v[3:4], v[3:4], s[4:5]
	v_cmp_gt_i32_e32 vcc, 31, v10
	v_cndmask_b32_e32 v6, v0, v6, vcc
	v_cmp_ne_u32_e32 vcc, 0, v9
	v_cndmask_b32_e64 v8, 0, 1, vcc
	v_lshl_or_b32 v8, v8, 9, v0
	v_cmp_eq_u32_e32 vcc, s10, v10
	v_cndmask_b32_e32 v6, v6, v8, vcc
	v_and_or_b32 v3, v4, s6, v3
	v_lshrrev_b32_e32 v5, 16, v5
	v_cmp_ne_u32_e32 vcc, 0, v3
	v_and_or_b32 v8, v5, s11, v6
	v_cndmask_b32_e64 v3, 0, 1, vcc
	v_lshrrev_b32_e32 v5, 8, v4
	v_bfe_u32 v6, v4, 20, 11
	v_and_or_b32 v3, v5, s7, v3
	v_sub_u32_e32 v9, 0x3f1, v6
	v_or_b32_e32 v5, 0x1000, v3
	v_med3_i32 v9, v9, 0, 13
	v_lshrrev_b32_e32 v10, v9, v5
	v_lshlrev_b32_e32 v9, v9, v10
	v_cmp_ne_u32_e32 vcc, v9, v5
	v_cndmask_b32_e64 v5, 0, 1, vcc
	v_add_u32_e32 v6, 0xfffffc10, v6
	v_or_b32_e32 v5, v10, v5
	v_lshl_or_b32 v9, v6, 12, v3
	v_cmp_gt_i32_e32 vcc, 1, v6
	v_cndmask_b32_e32 v5, v9, v5, vcc
	v_and_b32_e32 v9, 7, v5
	v_cmp_lt_i32_e32 vcc, 5, v9
	v_cmp_eq_u32_e64 s[0:1], 3, v9
	v_lshrrev_b32_e32 v9, 16, v7
	v_lshrrev_b32_e32 v5, 2, v5
	s_or_b64 vcc, s[0:1], vcc
	v_mul_f16_sdwa v10, v59, v9 dst_sel:DWORD dst_unused:UNUSED_PAD src0_sel:WORD_1 src1_sel:DWORD
	v_addc_co_u32_e32 v5, vcc, 0, v5, vcc
	v_fma_f16 v10, v59, v7, v10
	v_cmp_gt_i32_e32 vcc, 31, v6
	v_cvt_f32_f16_e32 v10, v10
	v_cndmask_b32_e32 v5, v0, v5, vcc
	v_cmp_ne_u32_e32 vcc, 0, v3
	v_cndmask_b32_e64 v3, 0, 1, vcc
	v_lshl_or_b32 v3, v3, 9, v0
	v_cmp_eq_u32_e32 vcc, s10, v6
	v_cndmask_b32_e32 v3, v5, v3, vcc
	v_cvt_f64_f32_e32 v[5:6], v10
	v_lshrrev_b32_e32 v4, 16, v4
	v_and_or_b32 v10, v4, s11, v3
	v_add_co_u32_e32 v1, vcc, s3, v1
	v_mul_f64 v[3:4], v[5:6], s[4:5]
	v_mov_b32_e32 v6, s2
	v_and_b32_e32 v8, 0xffff, v8
	v_addc_co_u32_e32 v2, vcc, v2, v6, vcc
	v_lshl_or_b32 v5, v10, 16, v8
	global_store_dword v[1:2], v5, off
	v_mul_f16_sdwa v7, v59, v7 dst_sel:DWORD dst_unused:UNUSED_PAD src0_sel:WORD_1 src1_sel:DWORD
	v_and_or_b32 v3, v4, s6, v3
	v_cmp_ne_u32_e32 vcc, 0, v3
	v_cndmask_b32_e64 v3, 0, 1, vcc
	v_lshrrev_b32_e32 v5, 8, v4
	v_bfe_u32 v6, v4, 20, 11
	v_and_or_b32 v3, v5, s7, v3
	v_sub_u32_e32 v8, 0x3f1, v6
	v_or_b32_e32 v5, 0x1000, v3
	v_med3_i32 v8, v8, 0, 13
	v_lshrrev_b32_e32 v10, v8, v5
	v_lshlrev_b32_e32 v8, v8, v10
	v_cmp_ne_u32_e32 vcc, v8, v5
	v_fma_f16 v7, v59, v9, -v7
	v_cndmask_b32_e64 v5, 0, 1, vcc
	v_add_u32_e32 v8, 0xfffffc10, v6
	v_cvt_f32_f16_e32 v7, v7
	v_or_b32_e32 v5, v10, v5
	v_lshl_or_b32 v6, v8, 12, v3
	v_cmp_gt_i32_e32 vcc, 1, v8
	v_cndmask_b32_e32 v5, v6, v5, vcc
	v_and_b32_e32 v6, 7, v5
	v_cmp_lt_i32_e32 vcc, 5, v6
	v_cmp_eq_u32_e64 s[0:1], 3, v6
	v_lshrrev_b32_e32 v9, 2, v5
	v_cvt_f64_f32_e32 v[5:6], v7
	s_or_b64 vcc, s[0:1], vcc
	v_addc_co_u32_e32 v7, vcc, 0, v9, vcc
	v_mul_f64 v[5:6], v[5:6], s[4:5]
	v_cmp_gt_i32_e32 vcc, 31, v8
	v_cndmask_b32_e32 v7, v0, v7, vcc
	v_cmp_ne_u32_e32 vcc, 0, v3
	v_cndmask_b32_e64 v3, 0, 1, vcc
	v_lshl_or_b32 v3, v3, 9, v0
	v_cmp_eq_u32_e32 vcc, s10, v8
	v_cndmask_b32_e32 v3, v7, v3, vcc
	v_lshrrev_b32_e32 v4, 16, v4
	v_and_or_b32 v9, v4, s11, v3
	v_and_or_b32 v3, v6, s6, v5
	v_cmp_ne_u32_e32 vcc, 0, v3
	v_cndmask_b32_e64 v3, 0, 1, vcc
	v_lshrrev_b32_e32 v4, 8, v6
	v_and_or_b32 v5, v4, s7, v3
	v_bfe_u32 v4, v6, 20, 11
	v_sub_u32_e32 v7, 0x3f1, v4
	v_or_b32_e32 v3, 0x1000, v5
	v_med3_i32 v7, v7, 0, 13
	v_lshrrev_b32_e32 v8, v7, v3
	v_lshlrev_b32_e32 v7, v7, v8
	v_cmp_ne_u32_e32 vcc, v7, v3
	v_cndmask_b32_e64 v3, 0, 1, vcc
	v_add_u32_e32 v7, 0xfffffc10, v4
	v_or_b32_e32 v3, v8, v3
	v_lshl_or_b32 v4, v7, 12, v5
	v_cmp_gt_i32_e32 vcc, 1, v7
	v_cndmask_b32_e32 v3, v4, v3, vcc
	v_and_b32_e32 v4, 7, v3
	v_cmp_lt_i32_e32 vcc, 5, v4
	v_cmp_eq_u32_e64 s[0:1], 3, v4
	v_lshrrev_b32_e32 v3, 2, v3
	s_or_b64 vcc, s[0:1], vcc
	v_addc_co_u32_e32 v8, vcc, 0, v3, vcc
	ds_read2_b32 v[3:4], v45 offset0:204 offset1:255
	v_cmp_gt_i32_e32 vcc, 31, v7
	v_cndmask_b32_e32 v8, v0, v8, vcc
	v_cmp_ne_u32_e32 vcc, 0, v5
	v_cndmask_b32_e64 v5, 0, 1, vcc
	s_waitcnt lgkmcnt(0)
	v_lshrrev_b32_e32 v10, 16, v3
	v_mul_f16_sdwa v11, v58, v10 dst_sel:DWORD dst_unused:UNUSED_PAD src0_sel:WORD_1 src1_sel:DWORD
	v_fma_f16 v11, v58, v3, v11
	v_cvt_f32_f16_e32 v11, v11
	v_lshl_or_b32 v5, v5, 9, v0
	v_cmp_eq_u32_e32 vcc, s10, v7
	v_cndmask_b32_e32 v5, v8, v5, vcc
	v_cvt_f64_f32_e32 v[7:8], v11
	v_lshrrev_b32_e32 v6, 16, v6
	v_and_or_b32 v11, v6, s11, v5
	v_add_co_u32_e32 v1, vcc, s3, v1
	v_mul_f64 v[5:6], v[7:8], s[4:5]
	v_mov_b32_e32 v8, s2
	v_and_b32_e32 v9, 0xffff, v9
	v_addc_co_u32_e32 v2, vcc, v2, v8, vcc
	v_lshl_or_b32 v7, v11, 16, v9
	global_store_dword v[1:2], v7, off
	v_mul_f16_sdwa v3, v58, v3 dst_sel:DWORD dst_unused:UNUSED_PAD src0_sel:WORD_1 src1_sel:DWORD
	v_and_or_b32 v5, v6, s6, v5
	v_cmp_ne_u32_e32 vcc, 0, v5
	v_cndmask_b32_e64 v5, 0, 1, vcc
	v_lshrrev_b32_e32 v7, 8, v6
	v_bfe_u32 v8, v6, 20, 11
	v_and_or_b32 v5, v7, s7, v5
	v_sub_u32_e32 v9, 0x3f1, v8
	v_or_b32_e32 v7, 0x1000, v5
	v_med3_i32 v9, v9, 0, 13
	v_lshrrev_b32_e32 v11, v9, v7
	v_lshlrev_b32_e32 v9, v9, v11
	v_cmp_ne_u32_e32 vcc, v9, v7
	v_fma_f16 v3, v58, v10, -v3
	v_cndmask_b32_e64 v7, 0, 1, vcc
	v_add_u32_e32 v9, 0xfffffc10, v8
	v_cvt_f32_f16_e32 v3, v3
	v_or_b32_e32 v7, v11, v7
	v_lshl_or_b32 v8, v9, 12, v5
	v_cmp_gt_i32_e32 vcc, 1, v9
	v_cndmask_b32_e32 v7, v8, v7, vcc
	v_and_b32_e32 v8, 7, v7
	v_cmp_lt_i32_e32 vcc, 5, v8
	v_cmp_eq_u32_e64 s[0:1], 3, v8
	v_lshrrev_b32_e32 v10, 2, v7
	v_cvt_f64_f32_e32 v[7:8], v3
	s_or_b64 vcc, s[0:1], vcc
	v_addc_co_u32_e32 v3, vcc, 0, v10, vcc
	v_mul_f64 v[7:8], v[7:8], s[4:5]
	v_cmp_gt_i32_e32 vcc, 31, v9
	v_cndmask_b32_e32 v3, v0, v3, vcc
	v_cmp_ne_u32_e32 vcc, 0, v5
	v_cndmask_b32_e64 v5, 0, 1, vcc
	v_lshl_or_b32 v5, v5, 9, v0
	v_cmp_eq_u32_e32 vcc, s10, v9
	v_cndmask_b32_e32 v3, v3, v5, vcc
	v_lshrrev_b32_e32 v5, 16, v6
	v_and_or_b32 v3, v5, s11, v3
	v_and_or_b32 v5, v8, s6, v7
	v_cmp_ne_u32_e32 vcc, 0, v5
	v_cndmask_b32_e64 v5, 0, 1, vcc
	v_lshrrev_b32_e32 v6, 8, v8
	v_bfe_u32 v7, v8, 20, 11
	v_and_or_b32 v5, v6, s7, v5
	v_sub_u32_e32 v9, 0x3f1, v7
	v_or_b32_e32 v6, 0x1000, v5
	v_med3_i32 v9, v9, 0, 13
	v_lshrrev_b32_e32 v10, v9, v6
	v_lshlrev_b32_e32 v9, v9, v10
	v_cmp_ne_u32_e32 vcc, v9, v6
	v_cndmask_b32_e64 v6, 0, 1, vcc
	v_add_u32_e32 v7, 0xfffffc10, v7
	v_or_b32_e32 v6, v10, v6
	v_lshl_or_b32 v9, v7, 12, v5
	v_cmp_gt_i32_e32 vcc, 1, v7
	v_cndmask_b32_e32 v6, v9, v6, vcc
	v_and_b32_e32 v9, 7, v6
	v_cmp_lt_i32_e32 vcc, 5, v9
	v_cmp_eq_u32_e64 s[0:1], 3, v9
	v_lshrrev_b32_e32 v9, 16, v4
	v_lshrrev_b32_e32 v6, 2, v6
	s_or_b64 vcc, s[0:1], vcc
	v_mul_f16_sdwa v10, v57, v9 dst_sel:DWORD dst_unused:UNUSED_PAD src0_sel:WORD_1 src1_sel:DWORD
	v_addc_co_u32_e32 v6, vcc, 0, v6, vcc
	v_fma_f16 v10, v57, v4, v10
	v_cmp_gt_i32_e32 vcc, 31, v7
	v_cvt_f32_f16_e32 v10, v10
	v_cndmask_b32_e32 v6, v0, v6, vcc
	v_cmp_ne_u32_e32 vcc, 0, v5
	v_cndmask_b32_e64 v5, 0, 1, vcc
	v_lshl_or_b32 v5, v5, 9, v0
	v_cmp_eq_u32_e32 vcc, s10, v7
	v_cndmask_b32_e32 v7, v6, v5, vcc
	v_cvt_f64_f32_e32 v[5:6], v10
	v_lshrrev_b32_e32 v8, 16, v8
	v_and_or_b32 v7, v8, s11, v7
	v_and_b32_e32 v3, 0xffff, v3
	v_mul_f64 v[5:6], v[5:6], s[4:5]
	v_lshl_or_b32 v3, v7, 16, v3
	v_mov_b32_e32 v7, s2
	v_add_co_u32_e32 v1, vcc, s3, v1
	v_addc_co_u32_e32 v2, vcc, v2, v7, vcc
	global_store_dword v[1:2], v3, off
	v_and_or_b32 v3, v6, s6, v5
	v_cmp_ne_u32_e32 vcc, 0, v3
	v_cndmask_b32_e64 v3, 0, 1, vcc
	v_lshrrev_b32_e32 v5, 8, v6
	v_bfe_u32 v7, v6, 20, 11
	v_and_or_b32 v5, v5, s7, v3
	v_sub_u32_e32 v8, 0x3f1, v7
	v_or_b32_e32 v3, 0x1000, v5
	v_med3_i32 v8, v8, 0, 13
	v_lshrrev_b32_e32 v10, v8, v3
	v_lshlrev_b32_e32 v8, v8, v10
	v_mul_f16_sdwa v4, v57, v4 dst_sel:DWORD dst_unused:UNUSED_PAD src0_sel:WORD_1 src1_sel:DWORD
	v_cmp_ne_u32_e32 vcc, v8, v3
	v_fma_f16 v4, v57, v9, -v4
	v_cndmask_b32_e64 v3, 0, 1, vcc
	v_add_u32_e32 v7, 0xfffffc10, v7
	v_cvt_f32_f16_e32 v4, v4
	v_or_b32_e32 v3, v10, v3
	v_lshl_or_b32 v8, v7, 12, v5
	v_cmp_gt_i32_e32 vcc, 1, v7
	v_cndmask_b32_e32 v3, v8, v3, vcc
	v_and_b32_e32 v8, 7, v3
	v_cmp_lt_i32_e32 vcc, 5, v8
	v_cmp_eq_u32_e64 s[0:1], 3, v8
	v_lshrrev_b32_e32 v8, 2, v3
	v_cvt_f64_f32_e32 v[3:4], v4
	s_or_b64 vcc, s[0:1], vcc
	v_addc_co_u32_e32 v8, vcc, 0, v8, vcc
	v_mul_f64 v[3:4], v[3:4], s[4:5]
	v_cmp_gt_i32_e32 vcc, 31, v7
	v_cndmask_b32_e32 v8, v0, v8, vcc
	v_cmp_ne_u32_e32 vcc, 0, v5
	v_cndmask_b32_e64 v5, 0, 1, vcc
	v_lshl_or_b32 v5, v5, 9, v0
	v_cmp_eq_u32_e32 vcc, s10, v7
	v_cndmask_b32_e32 v5, v8, v5, vcc
	v_and_or_b32 v3, v4, s6, v3
	v_lshrrev_b32_e32 v6, 16, v6
	v_cmp_ne_u32_e32 vcc, 0, v3
	v_and_or_b32 v9, v6, s11, v5
	v_cndmask_b32_e64 v3, 0, 1, vcc
	v_lshrrev_b32_e32 v5, 8, v4
	v_bfe_u32 v6, v4, 20, 11
	v_and_or_b32 v3, v5, s7, v3
	v_sub_u32_e32 v7, 0x3f1, v6
	v_or_b32_e32 v5, 0x1000, v3
	v_med3_i32 v7, v7, 0, 13
	v_lshrrev_b32_e32 v8, v7, v5
	v_lshlrev_b32_e32 v7, v7, v8
	v_cmp_ne_u32_e32 vcc, v7, v5
	v_cndmask_b32_e64 v5, 0, 1, vcc
	v_add_u32_e32 v7, 0xfffffc10, v6
	v_or_b32_e32 v5, v8, v5
	v_lshl_or_b32 v6, v7, 12, v3
	v_cmp_gt_i32_e32 vcc, 1, v7
	v_cndmask_b32_e32 v5, v6, v5, vcc
	v_and_b32_e32 v6, 7, v5
	v_cmp_lt_i32_e32 vcc, 5, v6
	v_cmp_eq_u32_e64 s[0:1], 3, v6
	v_lshrrev_b32_e32 v5, 2, v5
	s_or_b64 vcc, s[0:1], vcc
	v_add_u32_e32 v10, 0x400, v45
	v_addc_co_u32_e32 v8, vcc, 0, v5, vcc
	ds_read2_b32 v[5:6], v10 offset0:50 offset1:101
	v_cmp_gt_i32_e32 vcc, 31, v7
	v_cndmask_b32_e32 v8, v0, v8, vcc
	v_cmp_ne_u32_e32 vcc, 0, v3
	v_cndmask_b32_e64 v3, 0, 1, vcc
	s_waitcnt lgkmcnt(0)
	v_lshrrev_b32_e32 v11, 16, v5
	v_mul_f16_sdwa v12, v56, v11 dst_sel:DWORD dst_unused:UNUSED_PAD src0_sel:WORD_1 src1_sel:DWORD
	v_fma_f16 v12, v56, v5, v12
	v_cvt_f32_f16_e32 v12, v12
	v_lshl_or_b32 v3, v3, 9, v0
	v_cmp_eq_u32_e32 vcc, s10, v7
	v_cndmask_b32_e32 v3, v8, v3, vcc
	v_cvt_f64_f32_e32 v[7:8], v12
	v_lshrrev_b32_e32 v4, 16, v4
	v_and_or_b32 v12, v4, s11, v3
	v_add_co_u32_e32 v1, vcc, s3, v1
	v_mul_f64 v[3:4], v[7:8], s[4:5]
	v_mov_b32_e32 v8, s2
	v_and_b32_e32 v9, 0xffff, v9
	v_addc_co_u32_e32 v2, vcc, v2, v8, vcc
	v_lshl_or_b32 v7, v12, 16, v9
	global_store_dword v[1:2], v7, off
	v_mul_f16_sdwa v5, v56, v5 dst_sel:DWORD dst_unused:UNUSED_PAD src0_sel:WORD_1 src1_sel:DWORD
	v_and_or_b32 v3, v4, s6, v3
	v_cmp_ne_u32_e32 vcc, 0, v3
	v_cndmask_b32_e64 v3, 0, 1, vcc
	v_lshrrev_b32_e32 v7, 8, v4
	v_bfe_u32 v8, v4, 20, 11
	v_and_or_b32 v3, v7, s7, v3
	v_sub_u32_e32 v9, 0x3f1, v8
	v_or_b32_e32 v7, 0x1000, v3
	v_med3_i32 v9, v9, 0, 13
	v_lshrrev_b32_e32 v12, v9, v7
	v_lshlrev_b32_e32 v9, v9, v12
	v_cmp_ne_u32_e32 vcc, v9, v7
	v_fma_f16 v5, v56, v11, -v5
	v_cndmask_b32_e64 v7, 0, 1, vcc
	v_add_u32_e32 v9, 0xfffffc10, v8
	v_cvt_f32_f16_e32 v5, v5
	v_or_b32_e32 v7, v12, v7
	v_lshl_or_b32 v8, v9, 12, v3
	v_cmp_gt_i32_e32 vcc, 1, v9
	v_cndmask_b32_e32 v7, v8, v7, vcc
	v_and_b32_e32 v8, 7, v7
	v_cmp_lt_i32_e32 vcc, 5, v8
	v_cmp_eq_u32_e64 s[0:1], 3, v8
	v_lshrrev_b32_e32 v11, 2, v7
	v_cvt_f64_f32_e32 v[7:8], v5
	s_or_b64 vcc, s[0:1], vcc
	v_addc_co_u32_e32 v5, vcc, 0, v11, vcc
	v_mul_f64 v[7:8], v[7:8], s[4:5]
	v_cmp_gt_i32_e32 vcc, 31, v9
	v_cndmask_b32_e32 v5, v0, v5, vcc
	v_cmp_ne_u32_e32 vcc, 0, v3
	v_cndmask_b32_e64 v3, 0, 1, vcc
	v_lshl_or_b32 v3, v3, 9, v0
	v_cmp_eq_u32_e32 vcc, s10, v9
	v_cndmask_b32_e32 v3, v5, v3, vcc
	v_lshrrev_b32_e32 v4, 16, v4
	v_and_or_b32 v5, v4, s11, v3
	v_and_or_b32 v3, v8, s6, v7
	v_cmp_ne_u32_e32 vcc, 0, v3
	v_cndmask_b32_e64 v3, 0, 1, vcc
	v_lshrrev_b32_e32 v4, 8, v8
	v_bfe_u32 v7, v8, 20, 11
	v_and_or_b32 v3, v4, s7, v3
	v_sub_u32_e32 v9, 0x3f1, v7
	v_or_b32_e32 v4, 0x1000, v3
	v_med3_i32 v9, v9, 0, 13
	v_lshrrev_b32_e32 v11, v9, v4
	v_lshlrev_b32_e32 v9, v9, v11
	v_cmp_ne_u32_e32 vcc, v9, v4
	v_cndmask_b32_e64 v4, 0, 1, vcc
	v_add_u32_e32 v7, 0xfffffc10, v7
	v_or_b32_e32 v4, v11, v4
	v_lshl_or_b32 v9, v7, 12, v3
	v_cmp_gt_i32_e32 vcc, 1, v7
	v_cndmask_b32_e32 v4, v9, v4, vcc
	v_and_b32_e32 v9, 7, v4
	v_cmp_lt_i32_e32 vcc, 5, v9
	v_cmp_eq_u32_e64 s[0:1], 3, v9
	v_lshrrev_b32_e32 v9, 16, v6
	v_lshrrev_b32_e32 v4, 2, v4
	s_or_b64 vcc, s[0:1], vcc
	v_mul_f16_sdwa v11, v55, v9 dst_sel:DWORD dst_unused:UNUSED_PAD src0_sel:WORD_1 src1_sel:DWORD
	v_addc_co_u32_e32 v4, vcc, 0, v4, vcc
	v_fma_f16 v11, v55, v6, v11
	v_cmp_gt_i32_e32 vcc, 31, v7
	v_cvt_f32_f16_e32 v11, v11
	v_cndmask_b32_e32 v4, v0, v4, vcc
	v_cmp_ne_u32_e32 vcc, 0, v3
	v_cndmask_b32_e64 v3, 0, 1, vcc
	v_lshl_or_b32 v3, v3, 9, v0
	v_cmp_eq_u32_e32 vcc, s10, v7
	v_cndmask_b32_e32 v7, v4, v3, vcc
	v_cvt_f64_f32_e32 v[3:4], v11
	v_lshrrev_b32_e32 v8, 16, v8
	v_and_or_b32 v7, v8, s11, v7
	v_and_b32_e32 v5, 0xffff, v5
	v_mul_f64 v[3:4], v[3:4], s[4:5]
	v_lshl_or_b32 v5, v7, 16, v5
	v_mov_b32_e32 v7, s2
	v_add_co_u32_e32 v1, vcc, s3, v1
	v_addc_co_u32_e32 v2, vcc, v2, v7, vcc
	global_store_dword v[1:2], v5, off
	v_and_or_b32 v3, v4, s6, v3
	v_cmp_ne_u32_e32 vcc, 0, v3
	v_cndmask_b32_e64 v3, 0, 1, vcc
	v_lshrrev_b32_e32 v5, 8, v4
	v_bfe_u32 v7, v4, 20, 11
	v_and_or_b32 v3, v5, s7, v3
	v_sub_u32_e32 v8, 0x3f1, v7
	v_or_b32_e32 v5, 0x1000, v3
	v_med3_i32 v8, v8, 0, 13
	v_lshrrev_b32_e32 v11, v8, v5
	v_lshlrev_b32_e32 v8, v8, v11
	v_mul_f16_sdwa v6, v55, v6 dst_sel:DWORD dst_unused:UNUSED_PAD src0_sel:WORD_1 src1_sel:DWORD
	v_cmp_ne_u32_e32 vcc, v8, v5
	v_fma_f16 v6, v55, v9, -v6
	v_cndmask_b32_e64 v5, 0, 1, vcc
	v_add_u32_e32 v7, 0xfffffc10, v7
	v_cvt_f32_f16_e32 v6, v6
	v_or_b32_e32 v5, v11, v5
	v_lshl_or_b32 v8, v7, 12, v3
	v_cmp_gt_i32_e32 vcc, 1, v7
	v_cndmask_b32_e32 v5, v8, v5, vcc
	v_and_b32_e32 v8, 7, v5
	v_cmp_lt_i32_e32 vcc, 5, v8
	v_cmp_eq_u32_e64 s[0:1], 3, v8
	v_lshrrev_b32_e32 v8, 2, v5
	v_cvt_f64_f32_e32 v[5:6], v6
	s_or_b64 vcc, s[0:1], vcc
	v_addc_co_u32_e32 v8, vcc, 0, v8, vcc
	v_mul_f64 v[5:6], v[5:6], s[4:5]
	v_cmp_gt_i32_e32 vcc, 31, v7
	v_cndmask_b32_e32 v8, v0, v8, vcc
	v_cmp_ne_u32_e32 vcc, 0, v3
	v_cndmask_b32_e64 v3, 0, 1, vcc
	v_lshl_or_b32 v3, v3, 9, v0
	v_cmp_eq_u32_e32 vcc, s10, v7
	v_cndmask_b32_e32 v3, v8, v3, vcc
	v_lshrrev_b32_e32 v4, 16, v4
	v_and_or_b32 v9, v4, s11, v3
	v_and_or_b32 v3, v6, s6, v5
	v_cmp_ne_u32_e32 vcc, 0, v3
	v_cndmask_b32_e64 v3, 0, 1, vcc
	v_lshrrev_b32_e32 v4, 8, v6
	v_and_or_b32 v5, v4, s7, v3
	v_bfe_u32 v4, v6, 20, 11
	v_sub_u32_e32 v7, 0x3f1, v4
	v_or_b32_e32 v3, 0x1000, v5
	v_med3_i32 v7, v7, 0, 13
	v_lshrrev_b32_e32 v8, v7, v3
	v_lshlrev_b32_e32 v7, v7, v8
	v_cmp_ne_u32_e32 vcc, v7, v3
	v_cndmask_b32_e64 v3, 0, 1, vcc
	v_add_u32_e32 v7, 0xfffffc10, v4
	v_or_b32_e32 v3, v8, v3
	v_lshl_or_b32 v4, v7, 12, v5
	v_cmp_gt_i32_e32 vcc, 1, v7
	v_cndmask_b32_e32 v3, v4, v3, vcc
	v_and_b32_e32 v4, 7, v3
	v_cmp_lt_i32_e32 vcc, 5, v4
	v_cmp_eq_u32_e64 s[0:1], 3, v4
	v_lshrrev_b32_e32 v3, 2, v3
	s_or_b64 vcc, s[0:1], vcc
	v_addc_co_u32_e32 v8, vcc, 0, v3, vcc
	ds_read2_b32 v[3:4], v10 offset0:152 offset1:203
	v_cmp_gt_i32_e32 vcc, 31, v7
	v_cndmask_b32_e32 v8, v0, v8, vcc
	v_cmp_ne_u32_e32 vcc, 0, v5
	v_cndmask_b32_e64 v5, 0, 1, vcc
	s_waitcnt lgkmcnt(0)
	v_lshrrev_b32_e32 v10, 16, v3
	v_mul_f16_sdwa v11, v54, v10 dst_sel:DWORD dst_unused:UNUSED_PAD src0_sel:WORD_1 src1_sel:DWORD
	v_fma_f16 v11, v54, v3, v11
	v_cvt_f32_f16_e32 v11, v11
	v_lshl_or_b32 v5, v5, 9, v0
	v_cmp_eq_u32_e32 vcc, s10, v7
	v_cndmask_b32_e32 v5, v8, v5, vcc
	v_cvt_f64_f32_e32 v[7:8], v11
	v_lshrrev_b32_e32 v6, 16, v6
	v_and_or_b32 v11, v6, s11, v5
	v_add_co_u32_e32 v1, vcc, s3, v1
	v_mul_f64 v[5:6], v[7:8], s[4:5]
	v_mov_b32_e32 v8, s2
	v_and_b32_e32 v9, 0xffff, v9
	v_addc_co_u32_e32 v2, vcc, v2, v8, vcc
	v_lshl_or_b32 v7, v11, 16, v9
	global_store_dword v[1:2], v7, off
	v_mul_f16_sdwa v3, v54, v3 dst_sel:DWORD dst_unused:UNUSED_PAD src0_sel:WORD_1 src1_sel:DWORD
	v_and_or_b32 v5, v6, s6, v5
	v_cmp_ne_u32_e32 vcc, 0, v5
	v_cndmask_b32_e64 v5, 0, 1, vcc
	v_lshrrev_b32_e32 v7, 8, v6
	v_bfe_u32 v8, v6, 20, 11
	v_and_or_b32 v5, v7, s7, v5
	v_sub_u32_e32 v9, 0x3f1, v8
	v_or_b32_e32 v7, 0x1000, v5
	v_med3_i32 v9, v9, 0, 13
	v_lshrrev_b32_e32 v11, v9, v7
	v_lshlrev_b32_e32 v9, v9, v11
	v_cmp_ne_u32_e32 vcc, v9, v7
	v_fma_f16 v3, v54, v10, -v3
	v_cndmask_b32_e64 v7, 0, 1, vcc
	v_add_u32_e32 v9, 0xfffffc10, v8
	v_cvt_f32_f16_e32 v3, v3
	v_or_b32_e32 v7, v11, v7
	v_lshl_or_b32 v8, v9, 12, v5
	v_cmp_gt_i32_e32 vcc, 1, v9
	v_cndmask_b32_e32 v7, v8, v7, vcc
	v_and_b32_e32 v8, 7, v7
	v_cmp_lt_i32_e32 vcc, 5, v8
	v_cmp_eq_u32_e64 s[0:1], 3, v8
	v_lshrrev_b32_e32 v10, 2, v7
	v_cvt_f64_f32_e32 v[7:8], v3
	s_or_b64 vcc, s[0:1], vcc
	v_addc_co_u32_e32 v3, vcc, 0, v10, vcc
	v_mul_f64 v[7:8], v[7:8], s[4:5]
	v_cmp_gt_i32_e32 vcc, 31, v9
	v_cndmask_b32_e32 v3, v0, v3, vcc
	v_cmp_ne_u32_e32 vcc, 0, v5
	v_cndmask_b32_e64 v5, 0, 1, vcc
	v_lshl_or_b32 v5, v5, 9, v0
	v_cmp_eq_u32_e32 vcc, s10, v9
	v_cndmask_b32_e32 v3, v3, v5, vcc
	v_lshrrev_b32_e32 v5, 16, v6
	v_and_or_b32 v3, v5, s11, v3
	v_and_or_b32 v5, v8, s6, v7
	v_cmp_ne_u32_e32 vcc, 0, v5
	v_cndmask_b32_e64 v5, 0, 1, vcc
	v_lshrrev_b32_e32 v6, 8, v8
	v_bfe_u32 v7, v8, 20, 11
	v_and_or_b32 v5, v6, s7, v5
	v_sub_u32_e32 v9, 0x3f1, v7
	v_or_b32_e32 v6, 0x1000, v5
	v_med3_i32 v9, v9, 0, 13
	v_lshrrev_b32_e32 v10, v9, v6
	v_lshlrev_b32_e32 v9, v9, v10
	v_cmp_ne_u32_e32 vcc, v9, v6
	v_cndmask_b32_e64 v6, 0, 1, vcc
	v_add_u32_e32 v7, 0xfffffc10, v7
	v_or_b32_e32 v6, v10, v6
	v_lshl_or_b32 v9, v7, 12, v5
	v_cmp_gt_i32_e32 vcc, 1, v7
	v_cndmask_b32_e32 v6, v9, v6, vcc
	v_and_b32_e32 v9, 7, v6
	v_cmp_lt_i32_e32 vcc, 5, v9
	v_cmp_eq_u32_e64 s[0:1], 3, v9
	v_lshrrev_b32_e32 v9, 16, v4
	v_lshrrev_b32_e32 v6, 2, v6
	s_or_b64 vcc, s[0:1], vcc
	v_mul_f16_sdwa v10, v53, v9 dst_sel:DWORD dst_unused:UNUSED_PAD src0_sel:WORD_1 src1_sel:DWORD
	v_addc_co_u32_e32 v6, vcc, 0, v6, vcc
	v_fma_f16 v10, v53, v4, v10
	v_cmp_gt_i32_e32 vcc, 31, v7
	v_cvt_f32_f16_e32 v10, v10
	v_cndmask_b32_e32 v6, v0, v6, vcc
	v_cmp_ne_u32_e32 vcc, 0, v5
	v_cndmask_b32_e64 v5, 0, 1, vcc
	v_lshl_or_b32 v5, v5, 9, v0
	v_cmp_eq_u32_e32 vcc, s10, v7
	v_cndmask_b32_e32 v7, v6, v5, vcc
	v_cvt_f64_f32_e32 v[5:6], v10
	v_lshrrev_b32_e32 v8, 16, v8
	v_and_or_b32 v7, v8, s11, v7
	v_and_b32_e32 v3, 0xffff, v3
	v_mul_f64 v[5:6], v[5:6], s[4:5]
	v_lshl_or_b32 v3, v7, 16, v3
	v_mov_b32_e32 v7, s2
	v_add_co_u32_e32 v1, vcc, s3, v1
	v_addc_co_u32_e32 v2, vcc, v2, v7, vcc
	global_store_dword v[1:2], v3, off
	v_and_or_b32 v3, v6, s6, v5
	v_cmp_ne_u32_e32 vcc, 0, v3
	v_cndmask_b32_e64 v3, 0, 1, vcc
	v_lshrrev_b32_e32 v5, 8, v6
	v_bfe_u32 v7, v6, 20, 11
	v_and_or_b32 v5, v5, s7, v3
	v_sub_u32_e32 v8, 0x3f1, v7
	v_or_b32_e32 v3, 0x1000, v5
	v_med3_i32 v8, v8, 0, 13
	v_lshrrev_b32_e32 v10, v8, v3
	v_lshlrev_b32_e32 v8, v8, v10
	v_mul_f16_sdwa v4, v53, v4 dst_sel:DWORD dst_unused:UNUSED_PAD src0_sel:WORD_1 src1_sel:DWORD
	v_cmp_ne_u32_e32 vcc, v8, v3
	v_fma_f16 v4, v53, v9, -v4
	v_cndmask_b32_e64 v3, 0, 1, vcc
	v_add_u32_e32 v7, 0xfffffc10, v7
	v_cvt_f32_f16_e32 v4, v4
	v_or_b32_e32 v3, v10, v3
	v_lshl_or_b32 v8, v7, 12, v5
	v_cmp_gt_i32_e32 vcc, 1, v7
	v_cndmask_b32_e32 v3, v8, v3, vcc
	v_and_b32_e32 v8, 7, v3
	v_cmp_lt_i32_e32 vcc, 5, v8
	v_cmp_eq_u32_e64 s[0:1], 3, v8
	v_lshrrev_b32_e32 v8, 2, v3
	v_cvt_f64_f32_e32 v[3:4], v4
	s_or_b64 vcc, s[0:1], vcc
	v_addc_co_u32_e32 v8, vcc, 0, v8, vcc
	v_mul_f64 v[3:4], v[3:4], s[4:5]
	v_cmp_gt_i32_e32 vcc, 31, v7
	v_cndmask_b32_e32 v8, v0, v8, vcc
	v_cmp_ne_u32_e32 vcc, 0, v5
	v_cndmask_b32_e64 v5, 0, 1, vcc
	v_lshl_or_b32 v5, v5, 9, v0
	v_cmp_eq_u32_e32 vcc, s10, v7
	v_cndmask_b32_e32 v5, v8, v5, vcc
	v_and_or_b32 v3, v4, s6, v3
	v_lshrrev_b32_e32 v6, 16, v6
	v_cmp_ne_u32_e32 vcc, 0, v3
	v_and_or_b32 v9, v6, s11, v5
	v_cndmask_b32_e64 v3, 0, 1, vcc
	v_lshrrev_b32_e32 v5, 8, v4
	v_bfe_u32 v6, v4, 20, 11
	v_and_or_b32 v3, v5, s7, v3
	v_sub_u32_e32 v7, 0x3f1, v6
	v_or_b32_e32 v5, 0x1000, v3
	v_med3_i32 v7, v7, 0, 13
	v_lshrrev_b32_e32 v8, v7, v5
	v_lshlrev_b32_e32 v7, v7, v8
	v_cmp_ne_u32_e32 vcc, v7, v5
	v_cndmask_b32_e64 v5, 0, 1, vcc
	v_add_u32_e32 v7, 0xfffffc10, v6
	v_or_b32_e32 v5, v8, v5
	v_lshl_or_b32 v6, v7, 12, v3
	v_cmp_gt_i32_e32 vcc, 1, v7
	v_cndmask_b32_e32 v5, v6, v5, vcc
	v_and_b32_e32 v6, 7, v5
	v_cmp_lt_i32_e32 vcc, 5, v6
	v_cmp_eq_u32_e64 s[0:1], 3, v6
	v_lshrrev_b32_e32 v5, 2, v5
	s_or_b64 vcc, s[0:1], vcc
	v_addc_co_u32_e32 v8, vcc, 0, v5, vcc
	v_add_u32_e32 v5, 0x600, v45
	ds_read2_b32 v[5:6], v5 offset0:126 offset1:177
	v_cmp_gt_i32_e32 vcc, 31, v7
	v_cndmask_b32_e32 v8, v0, v8, vcc
	v_cmp_ne_u32_e32 vcc, 0, v3
	v_cndmask_b32_e64 v3, 0, 1, vcc
	s_waitcnt lgkmcnt(0)
	v_lshrrev_b32_e32 v10, 16, v5
	v_mul_f16_sdwa v11, v52, v10 dst_sel:DWORD dst_unused:UNUSED_PAD src0_sel:WORD_1 src1_sel:DWORD
	v_fma_f16 v11, v52, v5, v11
	v_cvt_f32_f16_e32 v11, v11
	v_lshl_or_b32 v3, v3, 9, v0
	v_cmp_eq_u32_e32 vcc, s10, v7
	v_cndmask_b32_e32 v3, v8, v3, vcc
	v_cvt_f64_f32_e32 v[7:8], v11
	v_lshrrev_b32_e32 v4, 16, v4
	v_and_or_b32 v11, v4, s11, v3
	v_add_co_u32_e32 v1, vcc, s3, v1
	v_mul_f64 v[3:4], v[7:8], s[4:5]
	v_mov_b32_e32 v8, s2
	v_and_b32_e32 v9, 0xffff, v9
	v_addc_co_u32_e32 v2, vcc, v2, v8, vcc
	v_lshl_or_b32 v7, v11, 16, v9
	global_store_dword v[1:2], v7, off
	v_mul_f16_sdwa v5, v52, v5 dst_sel:DWORD dst_unused:UNUSED_PAD src0_sel:WORD_1 src1_sel:DWORD
	v_and_or_b32 v3, v4, s6, v3
	v_cmp_ne_u32_e32 vcc, 0, v3
	v_cndmask_b32_e64 v3, 0, 1, vcc
	v_lshrrev_b32_e32 v7, 8, v4
	v_bfe_u32 v8, v4, 20, 11
	v_and_or_b32 v3, v7, s7, v3
	v_sub_u32_e32 v9, 0x3f1, v8
	v_or_b32_e32 v7, 0x1000, v3
	v_med3_i32 v9, v9, 0, 13
	v_lshrrev_b32_e32 v11, v9, v7
	v_lshlrev_b32_e32 v9, v9, v11
	v_cmp_ne_u32_e32 vcc, v9, v7
	v_fma_f16 v5, v52, v10, -v5
	v_cndmask_b32_e64 v7, 0, 1, vcc
	v_add_u32_e32 v9, 0xfffffc10, v8
	v_cvt_f32_f16_e32 v5, v5
	v_or_b32_e32 v7, v11, v7
	v_lshl_or_b32 v8, v9, 12, v3
	v_cmp_gt_i32_e32 vcc, 1, v9
	v_cndmask_b32_e32 v7, v8, v7, vcc
	v_and_b32_e32 v8, 7, v7
	v_cmp_lt_i32_e32 vcc, 5, v8
	v_cmp_eq_u32_e64 s[0:1], 3, v8
	v_lshrrev_b32_e32 v10, 2, v7
	v_cvt_f64_f32_e32 v[7:8], v5
	s_or_b64 vcc, s[0:1], vcc
	v_addc_co_u32_e32 v5, vcc, 0, v10, vcc
	v_mul_f64 v[7:8], v[7:8], s[4:5]
	v_cmp_gt_i32_e32 vcc, 31, v9
	v_cndmask_b32_e32 v5, v0, v5, vcc
	v_cmp_ne_u32_e32 vcc, 0, v3
	v_cndmask_b32_e64 v3, 0, 1, vcc
	v_lshl_or_b32 v3, v3, 9, v0
	v_cmp_eq_u32_e32 vcc, s10, v9
	v_cndmask_b32_e32 v3, v5, v3, vcc
	v_lshrrev_b32_e32 v4, 16, v4
	v_and_or_b32 v5, v4, s11, v3
	v_and_or_b32 v3, v8, s6, v7
	v_cmp_ne_u32_e32 vcc, 0, v3
	v_cndmask_b32_e64 v3, 0, 1, vcc
	v_lshrrev_b32_e32 v4, 8, v8
	v_bfe_u32 v7, v8, 20, 11
	v_and_or_b32 v3, v4, s7, v3
	v_sub_u32_e32 v9, 0x3f1, v7
	v_or_b32_e32 v4, 0x1000, v3
	v_med3_i32 v9, v9, 0, 13
	v_lshrrev_b32_e32 v10, v9, v4
	v_lshlrev_b32_e32 v9, v9, v10
	v_cmp_ne_u32_e32 vcc, v9, v4
	v_cndmask_b32_e64 v4, 0, 1, vcc
	v_add_u32_e32 v7, 0xfffffc10, v7
	v_or_b32_e32 v4, v10, v4
	v_lshl_or_b32 v9, v7, 12, v3
	v_cmp_gt_i32_e32 vcc, 1, v7
	v_cndmask_b32_e32 v4, v9, v4, vcc
	v_and_b32_e32 v9, 7, v4
	v_cmp_lt_i32_e32 vcc, 5, v9
	v_cmp_eq_u32_e64 s[0:1], 3, v9
	v_lshrrev_b32_e32 v9, 16, v6
	v_lshrrev_b32_e32 v4, 2, v4
	s_or_b64 vcc, s[0:1], vcc
	v_mul_f16_sdwa v10, v51, v9 dst_sel:DWORD dst_unused:UNUSED_PAD src0_sel:WORD_1 src1_sel:DWORD
	v_addc_co_u32_e32 v4, vcc, 0, v4, vcc
	v_fma_f16 v10, v51, v6, v10
	v_cmp_gt_i32_e32 vcc, 31, v7
	v_cvt_f32_f16_e32 v10, v10
	v_cndmask_b32_e32 v4, v0, v4, vcc
	v_cmp_ne_u32_e32 vcc, 0, v3
	v_cndmask_b32_e64 v3, 0, 1, vcc
	v_lshl_or_b32 v3, v3, 9, v0
	v_cmp_eq_u32_e32 vcc, s10, v7
	v_cndmask_b32_e32 v7, v4, v3, vcc
	v_cvt_f64_f32_e32 v[3:4], v10
	v_lshrrev_b32_e32 v8, 16, v8
	v_and_or_b32 v7, v8, s11, v7
	v_and_b32_e32 v5, 0xffff, v5
	v_mul_f64 v[3:4], v[3:4], s[4:5]
	v_lshl_or_b32 v5, v7, 16, v5
	v_mov_b32_e32 v7, s2
	v_add_co_u32_e32 v1, vcc, s3, v1
	v_addc_co_u32_e32 v2, vcc, v2, v7, vcc
	global_store_dword v[1:2], v5, off
	v_and_or_b32 v3, v4, s6, v3
	v_cmp_ne_u32_e32 vcc, 0, v3
	v_cndmask_b32_e64 v3, 0, 1, vcc
	v_lshrrev_b32_e32 v5, 8, v4
	v_bfe_u32 v7, v4, 20, 11
	v_and_or_b32 v3, v5, s7, v3
	v_sub_u32_e32 v8, 0x3f1, v7
	v_or_b32_e32 v5, 0x1000, v3
	v_med3_i32 v8, v8, 0, 13
	v_lshrrev_b32_e32 v10, v8, v5
	v_lshlrev_b32_e32 v8, v8, v10
	v_mul_f16_sdwa v6, v51, v6 dst_sel:DWORD dst_unused:UNUSED_PAD src0_sel:WORD_1 src1_sel:DWORD
	v_cmp_ne_u32_e32 vcc, v8, v5
	v_fma_f16 v6, v51, v9, -v6
	v_cndmask_b32_e64 v5, 0, 1, vcc
	v_add_u32_e32 v7, 0xfffffc10, v7
	v_cvt_f32_f16_e32 v6, v6
	v_or_b32_e32 v5, v10, v5
	v_lshl_or_b32 v8, v7, 12, v3
	v_cmp_gt_i32_e32 vcc, 1, v7
	v_cndmask_b32_e32 v5, v8, v5, vcc
	v_and_b32_e32 v8, 7, v5
	v_cmp_lt_i32_e32 vcc, 5, v8
	v_cmp_eq_u32_e64 s[0:1], 3, v8
	v_lshrrev_b32_e32 v8, 2, v5
	v_cvt_f64_f32_e32 v[5:6], v6
	s_or_b64 vcc, s[0:1], vcc
	v_addc_co_u32_e32 v8, vcc, 0, v8, vcc
	v_mul_f64 v[5:6], v[5:6], s[4:5]
	v_cmp_gt_i32_e32 vcc, 31, v7
	v_cndmask_b32_e32 v8, v0, v8, vcc
	v_cmp_ne_u32_e32 vcc, 0, v3
	v_cndmask_b32_e64 v3, 0, 1, vcc
	v_lshl_or_b32 v3, v3, 9, v0
	v_cmp_eq_u32_e32 vcc, s10, v7
	v_cndmask_b32_e32 v3, v8, v3, vcc
	v_lshrrev_b32_e32 v4, 16, v4
	v_and_or_b32 v9, v4, s11, v3
	v_and_or_b32 v3, v6, s6, v5
	v_cmp_ne_u32_e32 vcc, 0, v3
	v_cndmask_b32_e64 v3, 0, 1, vcc
	v_lshrrev_b32_e32 v4, 8, v6
	v_and_or_b32 v5, v4, s7, v3
	v_bfe_u32 v4, v6, 20, 11
	v_sub_u32_e32 v7, 0x3f1, v4
	v_or_b32_e32 v3, 0x1000, v5
	v_med3_i32 v7, v7, 0, 13
	v_lshrrev_b32_e32 v8, v7, v3
	v_lshlrev_b32_e32 v7, v7, v8
	v_cmp_ne_u32_e32 vcc, v7, v3
	v_cndmask_b32_e64 v3, 0, 1, vcc
	v_add_u32_e32 v7, 0xfffffc10, v4
	v_or_b32_e32 v3, v8, v3
	v_lshl_or_b32 v4, v7, 12, v5
	v_cmp_gt_i32_e32 vcc, 1, v7
	v_cndmask_b32_e32 v3, v4, v3, vcc
	v_and_b32_e32 v4, 7, v3
	v_cmp_lt_i32_e32 vcc, 5, v4
	v_cmp_eq_u32_e64 s[0:1], 3, v4
	v_lshrrev_b32_e32 v3, 2, v3
	s_or_b64 vcc, s[0:1], vcc
	v_add_u32_e32 v10, 0x800, v45
	v_addc_co_u32_e32 v8, vcc, 0, v3, vcc
	ds_read2_b32 v[3:4], v10 offset0:100 offset1:151
	v_cmp_gt_i32_e32 vcc, 31, v7
	v_cndmask_b32_e32 v8, v0, v8, vcc
	v_cmp_ne_u32_e32 vcc, 0, v5
	v_cndmask_b32_e64 v5, 0, 1, vcc
	s_waitcnt lgkmcnt(0)
	v_lshrrev_b32_e32 v11, 16, v3
	v_mul_f16_sdwa v12, v50, v11 dst_sel:DWORD dst_unused:UNUSED_PAD src0_sel:WORD_1 src1_sel:DWORD
	v_fma_f16 v12, v50, v3, v12
	v_cvt_f32_f16_e32 v12, v12
	v_lshl_or_b32 v5, v5, 9, v0
	v_cmp_eq_u32_e32 vcc, s10, v7
	v_cndmask_b32_e32 v5, v8, v5, vcc
	v_cvt_f64_f32_e32 v[7:8], v12
	v_lshrrev_b32_e32 v6, 16, v6
	v_and_or_b32 v12, v6, s11, v5
	v_add_co_u32_e32 v1, vcc, s3, v1
	v_mul_f64 v[5:6], v[7:8], s[4:5]
	v_mov_b32_e32 v8, s2
	v_and_b32_e32 v9, 0xffff, v9
	v_addc_co_u32_e32 v2, vcc, v2, v8, vcc
	v_lshl_or_b32 v7, v12, 16, v9
	global_store_dword v[1:2], v7, off
	v_mul_f16_sdwa v3, v50, v3 dst_sel:DWORD dst_unused:UNUSED_PAD src0_sel:WORD_1 src1_sel:DWORD
	v_and_or_b32 v5, v6, s6, v5
	v_cmp_ne_u32_e32 vcc, 0, v5
	v_cndmask_b32_e64 v5, 0, 1, vcc
	v_lshrrev_b32_e32 v7, 8, v6
	v_bfe_u32 v8, v6, 20, 11
	v_and_or_b32 v5, v7, s7, v5
	v_sub_u32_e32 v9, 0x3f1, v8
	v_or_b32_e32 v7, 0x1000, v5
	v_med3_i32 v9, v9, 0, 13
	v_lshrrev_b32_e32 v12, v9, v7
	v_lshlrev_b32_e32 v9, v9, v12
	v_cmp_ne_u32_e32 vcc, v9, v7
	v_fma_f16 v3, v50, v11, -v3
	v_cndmask_b32_e64 v7, 0, 1, vcc
	v_add_u32_e32 v9, 0xfffffc10, v8
	v_cvt_f32_f16_e32 v3, v3
	v_or_b32_e32 v7, v12, v7
	v_lshl_or_b32 v8, v9, 12, v5
	v_cmp_gt_i32_e32 vcc, 1, v9
	v_cndmask_b32_e32 v7, v8, v7, vcc
	v_and_b32_e32 v8, 7, v7
	v_cmp_lt_i32_e32 vcc, 5, v8
	v_cmp_eq_u32_e64 s[0:1], 3, v8
	v_lshrrev_b32_e32 v11, 2, v7
	v_cvt_f64_f32_e32 v[7:8], v3
	s_or_b64 vcc, s[0:1], vcc
	v_addc_co_u32_e32 v3, vcc, 0, v11, vcc
	v_mul_f64 v[7:8], v[7:8], s[4:5]
	v_cmp_gt_i32_e32 vcc, 31, v9
	v_cndmask_b32_e32 v3, v0, v3, vcc
	v_cmp_ne_u32_e32 vcc, 0, v5
	v_cndmask_b32_e64 v5, 0, 1, vcc
	v_lshl_or_b32 v5, v5, 9, v0
	v_cmp_eq_u32_e32 vcc, s10, v9
	v_cndmask_b32_e32 v3, v3, v5, vcc
	v_lshrrev_b32_e32 v5, 16, v6
	v_and_or_b32 v3, v5, s11, v3
	v_and_or_b32 v5, v8, s6, v7
	v_cmp_ne_u32_e32 vcc, 0, v5
	v_cndmask_b32_e64 v5, 0, 1, vcc
	v_lshrrev_b32_e32 v6, 8, v8
	v_bfe_u32 v7, v8, 20, 11
	v_and_or_b32 v5, v6, s7, v5
	v_sub_u32_e32 v9, 0x3f1, v7
	v_or_b32_e32 v6, 0x1000, v5
	v_med3_i32 v9, v9, 0, 13
	v_lshrrev_b32_e32 v11, v9, v6
	v_lshlrev_b32_e32 v9, v9, v11
	v_cmp_ne_u32_e32 vcc, v9, v6
	v_cndmask_b32_e64 v6, 0, 1, vcc
	v_add_u32_e32 v7, 0xfffffc10, v7
	v_or_b32_e32 v6, v11, v6
	v_lshl_or_b32 v9, v7, 12, v5
	v_cmp_gt_i32_e32 vcc, 1, v7
	v_cndmask_b32_e32 v6, v9, v6, vcc
	v_and_b32_e32 v9, 7, v6
	v_cmp_lt_i32_e32 vcc, 5, v9
	v_cmp_eq_u32_e64 s[0:1], 3, v9
	v_lshrrev_b32_e32 v9, 16, v4
	v_lshrrev_b32_e32 v6, 2, v6
	s_or_b64 vcc, s[0:1], vcc
	v_mul_f16_sdwa v11, v49, v9 dst_sel:DWORD dst_unused:UNUSED_PAD src0_sel:WORD_1 src1_sel:DWORD
	v_addc_co_u32_e32 v6, vcc, 0, v6, vcc
	v_fma_f16 v11, v49, v4, v11
	v_cmp_gt_i32_e32 vcc, 31, v7
	v_cvt_f32_f16_e32 v11, v11
	v_cndmask_b32_e32 v6, v0, v6, vcc
	v_cmp_ne_u32_e32 vcc, 0, v5
	v_cndmask_b32_e64 v5, 0, 1, vcc
	v_lshl_or_b32 v5, v5, 9, v0
	v_cmp_eq_u32_e32 vcc, s10, v7
	v_cndmask_b32_e32 v7, v6, v5, vcc
	v_cvt_f64_f32_e32 v[5:6], v11
	v_lshrrev_b32_e32 v8, 16, v8
	v_and_or_b32 v7, v8, s11, v7
	v_and_b32_e32 v3, 0xffff, v3
	v_mul_f64 v[5:6], v[5:6], s[4:5]
	v_lshl_or_b32 v3, v7, 16, v3
	v_mov_b32_e32 v7, s2
	v_add_co_u32_e32 v1, vcc, s3, v1
	v_addc_co_u32_e32 v2, vcc, v2, v7, vcc
	global_store_dword v[1:2], v3, off
	v_and_or_b32 v3, v6, s6, v5
	v_cmp_ne_u32_e32 vcc, 0, v3
	v_cndmask_b32_e64 v3, 0, 1, vcc
	v_lshrrev_b32_e32 v5, 8, v6
	v_bfe_u32 v7, v6, 20, 11
	v_and_or_b32 v5, v5, s7, v3
	v_sub_u32_e32 v8, 0x3f1, v7
	v_or_b32_e32 v3, 0x1000, v5
	v_med3_i32 v8, v8, 0, 13
	v_lshrrev_b32_e32 v11, v8, v3
	v_lshlrev_b32_e32 v8, v8, v11
	v_mul_f16_sdwa v4, v49, v4 dst_sel:DWORD dst_unused:UNUSED_PAD src0_sel:WORD_1 src1_sel:DWORD
	v_cmp_ne_u32_e32 vcc, v8, v3
	v_fma_f16 v4, v49, v9, -v4
	v_cndmask_b32_e64 v3, 0, 1, vcc
	v_add_u32_e32 v7, 0xfffffc10, v7
	v_cvt_f32_f16_e32 v4, v4
	v_or_b32_e32 v3, v11, v3
	v_lshl_or_b32 v8, v7, 12, v5
	v_cmp_gt_i32_e32 vcc, 1, v7
	v_cndmask_b32_e32 v3, v8, v3, vcc
	v_and_b32_e32 v8, 7, v3
	v_cmp_lt_i32_e32 vcc, 5, v8
	v_cmp_eq_u32_e64 s[0:1], 3, v8
	v_lshrrev_b32_e32 v8, 2, v3
	v_cvt_f64_f32_e32 v[3:4], v4
	s_or_b64 vcc, s[0:1], vcc
	v_addc_co_u32_e32 v8, vcc, 0, v8, vcc
	v_mul_f64 v[3:4], v[3:4], s[4:5]
	v_cmp_gt_i32_e32 vcc, 31, v7
	v_cndmask_b32_e32 v8, v0, v8, vcc
	v_cmp_ne_u32_e32 vcc, 0, v5
	v_cndmask_b32_e64 v5, 0, 1, vcc
	v_lshl_or_b32 v5, v5, 9, v0
	v_cmp_eq_u32_e32 vcc, s10, v7
	v_cndmask_b32_e32 v5, v8, v5, vcc
	v_and_or_b32 v3, v4, s6, v3
	v_lshrrev_b32_e32 v6, 16, v6
	v_cmp_ne_u32_e32 vcc, 0, v3
	v_and_or_b32 v9, v6, s11, v5
	v_cndmask_b32_e64 v3, 0, 1, vcc
	v_lshrrev_b32_e32 v5, 8, v4
	v_bfe_u32 v6, v4, 20, 11
	v_and_or_b32 v3, v5, s7, v3
	v_sub_u32_e32 v7, 0x3f1, v6
	v_or_b32_e32 v5, 0x1000, v3
	v_med3_i32 v7, v7, 0, 13
	v_lshrrev_b32_e32 v8, v7, v5
	v_lshlrev_b32_e32 v7, v7, v8
	v_cmp_ne_u32_e32 vcc, v7, v5
	v_cndmask_b32_e64 v5, 0, 1, vcc
	v_add_u32_e32 v7, 0xfffffc10, v6
	v_or_b32_e32 v5, v8, v5
	v_lshl_or_b32 v6, v7, 12, v3
	v_cmp_gt_i32_e32 vcc, 1, v7
	v_cndmask_b32_e32 v5, v6, v5, vcc
	v_and_b32_e32 v6, 7, v5
	v_cmp_lt_i32_e32 vcc, 5, v6
	v_cmp_eq_u32_e64 s[0:1], 3, v6
	v_lshrrev_b32_e32 v5, 2, v5
	s_or_b64 vcc, s[0:1], vcc
	v_addc_co_u32_e32 v8, vcc, 0, v5, vcc
	ds_read2_b32 v[5:6], v10 offset0:202 offset1:253
	v_cmp_gt_i32_e32 vcc, 31, v7
	v_cndmask_b32_e32 v8, v0, v8, vcc
	v_cmp_ne_u32_e32 vcc, 0, v3
	v_cndmask_b32_e64 v3, 0, 1, vcc
	s_waitcnt lgkmcnt(0)
	v_lshrrev_b32_e32 v10, 16, v5
	v_mul_f16_sdwa v11, v48, v10 dst_sel:DWORD dst_unused:UNUSED_PAD src0_sel:WORD_1 src1_sel:DWORD
	v_fma_f16 v11, v48, v5, v11
	v_cvt_f32_f16_e32 v11, v11
	v_lshl_or_b32 v3, v3, 9, v0
	v_cmp_eq_u32_e32 vcc, s10, v7
	v_cndmask_b32_e32 v3, v8, v3, vcc
	v_cvt_f64_f32_e32 v[7:8], v11
	v_lshrrev_b32_e32 v4, 16, v4
	v_and_or_b32 v11, v4, s11, v3
	v_add_co_u32_e32 v1, vcc, s3, v1
	v_mul_f64 v[3:4], v[7:8], s[4:5]
	v_mov_b32_e32 v8, s2
	v_and_b32_e32 v9, 0xffff, v9
	v_addc_co_u32_e32 v2, vcc, v2, v8, vcc
	v_lshl_or_b32 v7, v11, 16, v9
	global_store_dword v[1:2], v7, off
	v_mul_f16_sdwa v5, v48, v5 dst_sel:DWORD dst_unused:UNUSED_PAD src0_sel:WORD_1 src1_sel:DWORD
	v_and_or_b32 v3, v4, s6, v3
	v_cmp_ne_u32_e32 vcc, 0, v3
	v_cndmask_b32_e64 v3, 0, 1, vcc
	v_lshrrev_b32_e32 v7, 8, v4
	v_bfe_u32 v8, v4, 20, 11
	v_and_or_b32 v3, v7, s7, v3
	v_sub_u32_e32 v9, 0x3f1, v8
	v_or_b32_e32 v7, 0x1000, v3
	v_med3_i32 v9, v9, 0, 13
	v_lshrrev_b32_e32 v11, v9, v7
	v_lshlrev_b32_e32 v9, v9, v11
	v_cmp_ne_u32_e32 vcc, v9, v7
	v_fma_f16 v5, v48, v10, -v5
	v_cndmask_b32_e64 v7, 0, 1, vcc
	v_add_u32_e32 v9, 0xfffffc10, v8
	v_cvt_f32_f16_e32 v5, v5
	v_or_b32_e32 v7, v11, v7
	v_lshl_or_b32 v8, v9, 12, v3
	v_cmp_gt_i32_e32 vcc, 1, v9
	v_cndmask_b32_e32 v7, v8, v7, vcc
	v_and_b32_e32 v8, 7, v7
	v_cmp_lt_i32_e32 vcc, 5, v8
	v_cmp_eq_u32_e64 s[0:1], 3, v8
	v_lshrrev_b32_e32 v10, 2, v7
	v_cvt_f64_f32_e32 v[7:8], v5
	s_or_b64 vcc, s[0:1], vcc
	v_addc_co_u32_e32 v5, vcc, 0, v10, vcc
	v_mul_f64 v[7:8], v[7:8], s[4:5]
	v_cmp_gt_i32_e32 vcc, 31, v9
	v_cndmask_b32_e32 v5, v0, v5, vcc
	v_cmp_ne_u32_e32 vcc, 0, v3
	v_cndmask_b32_e64 v3, 0, 1, vcc
	v_lshl_or_b32 v3, v3, 9, v0
	v_cmp_eq_u32_e32 vcc, s10, v9
	v_cndmask_b32_e32 v3, v5, v3, vcc
	v_lshrrev_b32_e32 v4, 16, v4
	v_and_or_b32 v5, v4, s11, v3
	v_and_or_b32 v3, v8, s6, v7
	v_cmp_ne_u32_e32 vcc, 0, v3
	v_cndmask_b32_e64 v3, 0, 1, vcc
	v_lshrrev_b32_e32 v4, 8, v8
	v_bfe_u32 v7, v8, 20, 11
	v_and_or_b32 v3, v4, s7, v3
	v_sub_u32_e32 v9, 0x3f1, v7
	v_or_b32_e32 v4, 0x1000, v3
	v_med3_i32 v9, v9, 0, 13
	v_lshrrev_b32_e32 v10, v9, v4
	v_lshlrev_b32_e32 v9, v9, v10
	v_cmp_ne_u32_e32 vcc, v9, v4
	v_cndmask_b32_e64 v4, 0, 1, vcc
	v_add_u32_e32 v7, 0xfffffc10, v7
	v_or_b32_e32 v4, v10, v4
	v_lshl_or_b32 v9, v7, 12, v3
	v_cmp_gt_i32_e32 vcc, 1, v7
	v_cndmask_b32_e32 v4, v9, v4, vcc
	v_and_b32_e32 v9, 7, v4
	v_cmp_lt_i32_e32 vcc, 5, v9
	v_cmp_eq_u32_e64 s[0:1], 3, v9
	v_lshrrev_b32_e32 v9, 16, v6
	v_lshrrev_b32_e32 v4, 2, v4
	s_or_b64 vcc, s[0:1], vcc
	v_mul_f16_sdwa v10, v47, v9 dst_sel:DWORD dst_unused:UNUSED_PAD src0_sel:WORD_1 src1_sel:DWORD
	v_addc_co_u32_e32 v4, vcc, 0, v4, vcc
	v_fma_f16 v10, v47, v6, v10
	v_cmp_gt_i32_e32 vcc, 31, v7
	v_cvt_f32_f16_e32 v10, v10
	v_cndmask_b32_e32 v4, v0, v4, vcc
	v_cmp_ne_u32_e32 vcc, 0, v3
	v_cndmask_b32_e64 v3, 0, 1, vcc
	v_lshl_or_b32 v3, v3, 9, v0
	v_cmp_eq_u32_e32 vcc, s10, v7
	v_cndmask_b32_e32 v7, v4, v3, vcc
	v_cvt_f64_f32_e32 v[3:4], v10
	v_lshrrev_b32_e32 v8, 16, v8
	v_and_or_b32 v7, v8, s11, v7
	v_and_b32_e32 v5, 0xffff, v5
	v_mul_f64 v[3:4], v[3:4], s[4:5]
	v_lshl_or_b32 v5, v7, 16, v5
	v_mov_b32_e32 v7, s2
	v_add_co_u32_e32 v1, vcc, s3, v1
	v_addc_co_u32_e32 v2, vcc, v2, v7, vcc
	global_store_dword v[1:2], v5, off
	v_and_or_b32 v3, v4, s6, v3
	v_cmp_ne_u32_e32 vcc, 0, v3
	v_cndmask_b32_e64 v3, 0, 1, vcc
	v_lshrrev_b32_e32 v5, 8, v4
	v_bfe_u32 v7, v4, 20, 11
	v_and_or_b32 v3, v5, s7, v3
	v_sub_u32_e32 v8, 0x3f1, v7
	v_or_b32_e32 v5, 0x1000, v3
	v_med3_i32 v8, v8, 0, 13
	v_lshrrev_b32_e32 v10, v8, v5
	v_lshlrev_b32_e32 v8, v8, v10
	v_mul_f16_sdwa v6, v47, v6 dst_sel:DWORD dst_unused:UNUSED_PAD src0_sel:WORD_1 src1_sel:DWORD
	v_cmp_ne_u32_e32 vcc, v8, v5
	v_fma_f16 v6, v47, v9, -v6
	v_cndmask_b32_e64 v5, 0, 1, vcc
	v_add_u32_e32 v7, 0xfffffc10, v7
	v_cvt_f32_f16_e32 v6, v6
	v_or_b32_e32 v5, v10, v5
	v_lshl_or_b32 v8, v7, 12, v3
	v_cmp_gt_i32_e32 vcc, 1, v7
	v_cndmask_b32_e32 v5, v8, v5, vcc
	v_and_b32_e32 v8, 7, v5
	v_cmp_lt_i32_e32 vcc, 5, v8
	v_cmp_eq_u32_e64 s[0:1], 3, v8
	v_lshrrev_b32_e32 v8, 2, v5
	v_cvt_f64_f32_e32 v[5:6], v6
	s_or_b64 vcc, s[0:1], vcc
	v_addc_co_u32_e32 v8, vcc, 0, v8, vcc
	v_mul_f64 v[5:6], v[5:6], s[4:5]
	v_cmp_gt_i32_e32 vcc, 31, v7
	v_cndmask_b32_e32 v8, v0, v8, vcc
	v_cmp_ne_u32_e32 vcc, 0, v3
	v_cndmask_b32_e64 v3, 0, 1, vcc
	v_lshl_or_b32 v3, v3, 9, v0
	v_cmp_eq_u32_e32 vcc, s10, v7
	v_cndmask_b32_e32 v3, v8, v3, vcc
	v_lshrrev_b32_e32 v4, 16, v4
	v_and_or_b32 v7, v4, s11, v3
	v_and_or_b32 v3, v6, s6, v5
	v_cmp_ne_u32_e32 vcc, 0, v3
	v_cndmask_b32_e64 v3, 0, 1, vcc
	v_lshrrev_b32_e32 v4, 8, v6
	v_bfe_u32 v5, v6, 20, 11
	v_and_or_b32 v3, v4, s7, v3
	v_sub_u32_e32 v8, 0x3f1, v5
	v_or_b32_e32 v4, 0x1000, v3
	v_med3_i32 v8, v8, 0, 13
	v_lshrrev_b32_e32 v9, v8, v4
	v_lshlrev_b32_e32 v8, v8, v9
	v_cmp_ne_u32_e32 vcc, v8, v4
	v_cndmask_b32_e64 v4, 0, 1, vcc
	v_add_u32_e32 v5, 0xfffffc10, v5
	v_or_b32_e32 v4, v9, v4
	v_lshl_or_b32 v8, v5, 12, v3
	v_cmp_gt_i32_e32 vcc, 1, v5
	v_cndmask_b32_e32 v4, v8, v4, vcc
	v_and_b32_e32 v8, 7, v4
	v_cmp_lt_i32_e32 vcc, 5, v8
	v_cmp_eq_u32_e64 s[0:1], 3, v8
	ds_read_b32 v8, v45 offset:3264
	v_lshrrev_b32_e32 v4, 2, v4
	s_or_b64 vcc, s[0:1], vcc
	v_addc_co_u32_e32 v4, vcc, 0, v4, vcc
	s_waitcnt lgkmcnt(0)
	v_lshrrev_b32_e32 v9, 16, v8
	v_mul_f16_sdwa v10, v46, v9 dst_sel:DWORD dst_unused:UNUSED_PAD src0_sel:WORD_1 src1_sel:DWORD
	v_fma_f16 v10, v46, v8, v10
	v_cmp_gt_i32_e32 vcc, 31, v5
	v_cvt_f32_f16_e32 v10, v10
	v_cndmask_b32_e32 v4, v0, v4, vcc
	v_cmp_ne_u32_e32 vcc, 0, v3
	v_cndmask_b32_e64 v3, 0, 1, vcc
	v_lshl_or_b32 v3, v3, 9, v0
	v_cmp_eq_u32_e32 vcc, s10, v5
	v_cndmask_b32_e32 v5, v4, v3, vcc
	v_cvt_f64_f32_e32 v[3:4], v10
	v_lshrrev_b32_e32 v6, 16, v6
	v_and_or_b32 v5, v6, s11, v5
	v_and_b32_e32 v6, 0xffff, v7
	v_mul_f64 v[3:4], v[3:4], s[4:5]
	v_lshl_or_b32 v5, v5, 16, v6
	v_mov_b32_e32 v6, s2
	v_add_co_u32_e32 v1, vcc, s3, v1
	v_addc_co_u32_e32 v2, vcc, v2, v6, vcc
	global_store_dword v[1:2], v5, off
	v_and_or_b32 v3, v4, s6, v3
	v_cmp_ne_u32_e32 vcc, 0, v3
	v_cndmask_b32_e64 v3, 0, 1, vcc
	v_lshrrev_b32_e32 v5, 8, v4
	v_bfe_u32 v6, v4, 20, 11
	v_and_or_b32 v3, v5, s7, v3
	v_sub_u32_e32 v7, 0x3f1, v6
	v_or_b32_e32 v5, 0x1000, v3
	v_med3_i32 v7, v7, 0, 13
	v_lshrrev_b32_e32 v10, v7, v5
	v_lshlrev_b32_e32 v7, v7, v10
	v_mul_f16_sdwa v8, v46, v8 dst_sel:DWORD dst_unused:UNUSED_PAD src0_sel:WORD_1 src1_sel:DWORD
	v_cmp_ne_u32_e32 vcc, v7, v5
	v_fma_f16 v8, v46, v9, -v8
	v_cndmask_b32_e64 v5, 0, 1, vcc
	v_add_u32_e32 v7, 0xfffffc10, v6
	v_cvt_f32_f16_e32 v8, v8
	v_or_b32_e32 v5, v10, v5
	v_lshl_or_b32 v6, v7, 12, v3
	v_cmp_gt_i32_e32 vcc, 1, v7
	v_cndmask_b32_e32 v5, v6, v5, vcc
	v_and_b32_e32 v6, 7, v5
	v_cmp_lt_i32_e32 vcc, 5, v6
	v_cmp_eq_u32_e64 s[0:1], 3, v6
	v_lshrrev_b32_e32 v9, 2, v5
	v_cvt_f64_f32_e32 v[5:6], v8
	s_or_b64 vcc, s[0:1], vcc
	v_addc_co_u32_e32 v8, vcc, 0, v9, vcc
	v_mul_f64 v[5:6], v[5:6], s[4:5]
	v_cmp_gt_i32_e32 vcc, 31, v7
	v_cndmask_b32_e32 v8, v0, v8, vcc
	v_cmp_ne_u32_e32 vcc, 0, v3
	v_cndmask_b32_e64 v3, 0, 1, vcc
	v_lshl_or_b32 v3, v3, 9, v0
	v_cmp_eq_u32_e32 vcc, s10, v7
	v_cndmask_b32_e32 v3, v8, v3, vcc
	v_lshrrev_b32_e32 v4, 16, v4
	v_and_or_b32 v3, v4, s11, v3
	v_and_or_b32 v4, v6, s6, v5
	v_cmp_ne_u32_e32 vcc, 0, v4
	v_cndmask_b32_e64 v4, 0, 1, vcc
	v_lshrrev_b32_e32 v5, 8, v6
	v_bfe_u32 v7, v6, 20, 11
	v_and_or_b32 v4, v5, s7, v4
	v_sub_u32_e32 v8, 0x3f1, v7
	v_or_b32_e32 v5, 0x1000, v4
	v_med3_i32 v8, v8, 0, 13
	v_lshrrev_b32_e32 v9, v8, v5
	v_lshlrev_b32_e32 v8, v8, v9
	v_cmp_ne_u32_e32 vcc, v8, v5
	v_cndmask_b32_e64 v5, 0, 1, vcc
	v_add_u32_e32 v7, 0xfffffc10, v7
	v_or_b32_e32 v5, v9, v5
	v_lshl_or_b32 v8, v7, 12, v4
	v_cmp_gt_i32_e32 vcc, 1, v7
	v_cndmask_b32_e32 v5, v8, v5, vcc
	v_and_b32_e32 v8, 7, v5
	v_cmp_lt_i32_e32 vcc, 5, v8
	v_cmp_eq_u32_e64 s[0:1], 3, v8
	v_lshrrev_b32_e32 v5, 2, v5
	s_or_b64 vcc, s[0:1], vcc
	v_addc_co_u32_e32 v5, vcc, 0, v5, vcc
	v_cmp_gt_i32_e32 vcc, 31, v7
	v_cndmask_b32_e32 v5, v0, v5, vcc
	v_cmp_ne_u32_e32 vcc, 0, v4
	v_cndmask_b32_e64 v4, 0, 1, vcc
	v_lshl_or_b32 v0, v4, 9, v0
	v_cmp_eq_u32_e32 vcc, s10, v7
	v_cndmask_b32_e32 v0, v5, v0, vcc
	v_lshrrev_b32_e32 v4, 16, v6
	v_and_or_b32 v0, v4, s11, v0
	v_and_b32_e32 v3, 0xffff, v3
	v_lshl_or_b32 v3, v0, 16, v3
	v_mov_b32_e32 v4, s2
	v_add_co_u32_e32 v0, vcc, s3, v1
	v_addc_co_u32_e32 v1, vcc, v2, v4, vcc
	global_store_dword v[0:1], v3, off
.LBB0_10:
	s_endpgm
	.section	.rodata,"a",@progbits
	.p2align	6, 0x0
	.amdhsa_kernel bluestein_single_fwd_len867_dim1_half_op_CI_CI
		.amdhsa_group_segment_fixed_size 3468
		.amdhsa_private_segment_fixed_size 0
		.amdhsa_kernarg_size 104
		.amdhsa_user_sgpr_count 6
		.amdhsa_user_sgpr_private_segment_buffer 1
		.amdhsa_user_sgpr_dispatch_ptr 0
		.amdhsa_user_sgpr_queue_ptr 0
		.amdhsa_user_sgpr_kernarg_segment_ptr 1
		.amdhsa_user_sgpr_dispatch_id 0
		.amdhsa_user_sgpr_flat_scratch_init 0
		.amdhsa_user_sgpr_private_segment_size 0
		.amdhsa_uses_dynamic_stack 0
		.amdhsa_system_sgpr_private_segment_wavefront_offset 0
		.amdhsa_system_sgpr_workgroup_id_x 1
		.amdhsa_system_sgpr_workgroup_id_y 0
		.amdhsa_system_sgpr_workgroup_id_z 0
		.amdhsa_system_sgpr_workgroup_info 0
		.amdhsa_system_vgpr_workitem_id 0
		.amdhsa_next_free_vgpr 117
		.amdhsa_next_free_sgpr 34
		.amdhsa_reserve_vcc 1
		.amdhsa_reserve_flat_scratch 0
		.amdhsa_float_round_mode_32 0
		.amdhsa_float_round_mode_16_64 0
		.amdhsa_float_denorm_mode_32 3
		.amdhsa_float_denorm_mode_16_64 3
		.amdhsa_dx10_clamp 1
		.amdhsa_ieee_mode 1
		.amdhsa_fp16_overflow 0
		.amdhsa_exception_fp_ieee_invalid_op 0
		.amdhsa_exception_fp_denorm_src 0
		.amdhsa_exception_fp_ieee_div_zero 0
		.amdhsa_exception_fp_ieee_overflow 0
		.amdhsa_exception_fp_ieee_underflow 0
		.amdhsa_exception_fp_ieee_inexact 0
		.amdhsa_exception_int_div_zero 0
	.end_amdhsa_kernel
	.text
.Lfunc_end0:
	.size	bluestein_single_fwd_len867_dim1_half_op_CI_CI, .Lfunc_end0-bluestein_single_fwd_len867_dim1_half_op_CI_CI
                                        ; -- End function
	.section	.AMDGPU.csdata,"",@progbits
; Kernel info:
; codeLenInByte = 34388
; NumSgprs: 38
; NumVgprs: 117
; ScratchSize: 0
; MemoryBound: 0
; FloatMode: 240
; IeeeMode: 1
; LDSByteSize: 3468 bytes/workgroup (compile time only)
; SGPRBlocks: 4
; VGPRBlocks: 29
; NumSGPRsForWavesPerEU: 38
; NumVGPRsForWavesPerEU: 117
; Occupancy: 2
; WaveLimiterHint : 1
; COMPUTE_PGM_RSRC2:SCRATCH_EN: 0
; COMPUTE_PGM_RSRC2:USER_SGPR: 6
; COMPUTE_PGM_RSRC2:TRAP_HANDLER: 0
; COMPUTE_PGM_RSRC2:TGID_X_EN: 1
; COMPUTE_PGM_RSRC2:TGID_Y_EN: 0
; COMPUTE_PGM_RSRC2:TGID_Z_EN: 0
; COMPUTE_PGM_RSRC2:TIDIG_COMP_CNT: 0
	.type	__hip_cuid_b27ffa777b9ca213,@object ; @__hip_cuid_b27ffa777b9ca213
	.section	.bss,"aw",@nobits
	.globl	__hip_cuid_b27ffa777b9ca213
__hip_cuid_b27ffa777b9ca213:
	.byte	0                               ; 0x0
	.size	__hip_cuid_b27ffa777b9ca213, 1

	.ident	"AMD clang version 19.0.0git (https://github.com/RadeonOpenCompute/llvm-project roc-6.4.0 25133 c7fe45cf4b819c5991fe208aaa96edf142730f1d)"
	.section	".note.GNU-stack","",@progbits
	.addrsig
	.addrsig_sym __hip_cuid_b27ffa777b9ca213
	.amdgpu_metadata
---
amdhsa.kernels:
  - .args:
      - .actual_access:  read_only
        .address_space:  global
        .offset:         0
        .size:           8
        .value_kind:     global_buffer
      - .actual_access:  read_only
        .address_space:  global
        .offset:         8
        .size:           8
        .value_kind:     global_buffer
      - .actual_access:  read_only
        .address_space:  global
        .offset:         16
        .size:           8
        .value_kind:     global_buffer
      - .actual_access:  read_only
        .address_space:  global
        .offset:         24
        .size:           8
        .value_kind:     global_buffer
      - .actual_access:  read_only
        .address_space:  global
        .offset:         32
        .size:           8
        .value_kind:     global_buffer
      - .offset:         40
        .size:           8
        .value_kind:     by_value
      - .address_space:  global
        .offset:         48
        .size:           8
        .value_kind:     global_buffer
      - .address_space:  global
        .offset:         56
        .size:           8
        .value_kind:     global_buffer
      - .address_space:  global
        .offset:         64
        .size:           8
        .value_kind:     global_buffer
      - .address_space:  global
        .offset:         72
        .size:           8
        .value_kind:     global_buffer
      - .offset:         80
        .size:           4
        .value_kind:     by_value
      - .address_space:  global
        .offset:         88
        .size:           8
        .value_kind:     global_buffer
      - .address_space:  global
        .offset:         96
        .size:           8
        .value_kind:     global_buffer
    .group_segment_fixed_size: 3468
    .kernarg_segment_align: 8
    .kernarg_segment_size: 104
    .language:       OpenCL C
    .language_version:
      - 2
      - 0
    .max_flat_workgroup_size: 51
    .name:           bluestein_single_fwd_len867_dim1_half_op_CI_CI
    .private_segment_fixed_size: 0
    .sgpr_count:     38
    .sgpr_spill_count: 0
    .symbol:         bluestein_single_fwd_len867_dim1_half_op_CI_CI.kd
    .uniform_work_group_size: 1
    .uses_dynamic_stack: false
    .vgpr_count:     117
    .vgpr_spill_count: 0
    .wavefront_size: 64
amdhsa.target:   amdgcn-amd-amdhsa--gfx906
amdhsa.version:
  - 1
  - 2
...

	.end_amdgpu_metadata
